;; amdgpu-corpus repo=ROCm/rocFFT kind=compiled arch=gfx1201 opt=O3
	.text
	.amdgcn_target "amdgcn-amd-amdhsa--gfx1201"
	.amdhsa_code_object_version 6
	.protected	fft_rtc_back_len2880_factors_10_6_6_2_2_2_wgs_96_tpt_96_halfLds_sp_ip_CI_unitstride_sbrr_C2R_dirReg ; -- Begin function fft_rtc_back_len2880_factors_10_6_6_2_2_2_wgs_96_tpt_96_halfLds_sp_ip_CI_unitstride_sbrr_C2R_dirReg
	.globl	fft_rtc_back_len2880_factors_10_6_6_2_2_2_wgs_96_tpt_96_halfLds_sp_ip_CI_unitstride_sbrr_C2R_dirReg
	.p2align	8
	.type	fft_rtc_back_len2880_factors_10_6_6_2_2_2_wgs_96_tpt_96_halfLds_sp_ip_CI_unitstride_sbrr_C2R_dirReg,@function
fft_rtc_back_len2880_factors_10_6_6_2_2_2_wgs_96_tpt_96_halfLds_sp_ip_CI_unitstride_sbrr_C2R_dirReg: ; @fft_rtc_back_len2880_factors_10_6_6_2_2_2_wgs_96_tpt_96_halfLds_sp_ip_CI_unitstride_sbrr_C2R_dirReg
; %bb.0:
	s_clause 0x2
	s_load_b128 s[4:7], s[0:1], 0x0
	s_load_b64 s[8:9], s[0:1], 0x50
	s_load_b64 s[10:11], s[0:1], 0x18
	v_mul_u32_u24_e32 v1, 0x2ab, v0
	v_mov_b32_e32 v3, 0
	s_delay_alu instid0(VALU_DEP_2) | instskip(NEXT) | instid1(VALU_DEP_1)
	v_lshrrev_b32_e32 v1, 16, v1
	v_add_nc_u32_e32 v5, ttmp9, v1
	v_mov_b32_e32 v1, 0
	v_mov_b32_e32 v2, 0
	;; [unrolled: 1-line block ×3, first 2 shown]
	s_wait_kmcnt 0x0
	v_cmp_lt_u64_e64 s2, s[6:7], 2
	s_delay_alu instid0(VALU_DEP_1)
	s_and_b32 vcc_lo, exec_lo, s2
	s_cbranch_vccnz .LBB0_8
; %bb.1:
	s_load_b64 s[2:3], s[0:1], 0x10
	v_mov_b32_e32 v1, 0
	v_mov_b32_e32 v2, 0
	s_add_nc_u64 s[12:13], s[10:11], 8
	s_mov_b64 s[14:15], 1
	s_wait_kmcnt 0x0
	s_add_nc_u64 s[16:17], s[2:3], 8
	s_mov_b32 s3, 0
.LBB0_2:                                ; =>This Inner Loop Header: Depth=1
	s_load_b64 s[18:19], s[16:17], 0x0
                                        ; implicit-def: $vgpr7_vgpr8
	s_mov_b32 s2, exec_lo
	s_wait_kmcnt 0x0
	v_or_b32_e32 v4, s19, v6
	s_delay_alu instid0(VALU_DEP_1)
	v_cmpx_ne_u64_e32 0, v[3:4]
	s_wait_alu 0xfffe
	s_xor_b32 s20, exec_lo, s2
	s_cbranch_execz .LBB0_4
; %bb.3:                                ;   in Loop: Header=BB0_2 Depth=1
	s_cvt_f32_u32 s2, s18
	s_cvt_f32_u32 s21, s19
	s_sub_nc_u64 s[24:25], 0, s[18:19]
	s_wait_alu 0xfffe
	s_delay_alu instid0(SALU_CYCLE_1) | instskip(SKIP_1) | instid1(SALU_CYCLE_2)
	s_fmamk_f32 s2, s21, 0x4f800000, s2
	s_wait_alu 0xfffe
	v_s_rcp_f32 s2, s2
	s_delay_alu instid0(TRANS32_DEP_1) | instskip(SKIP_1) | instid1(SALU_CYCLE_2)
	s_mul_f32 s2, s2, 0x5f7ffffc
	s_wait_alu 0xfffe
	s_mul_f32 s21, s2, 0x2f800000
	s_wait_alu 0xfffe
	s_delay_alu instid0(SALU_CYCLE_2) | instskip(SKIP_1) | instid1(SALU_CYCLE_2)
	s_trunc_f32 s21, s21
	s_wait_alu 0xfffe
	s_fmamk_f32 s2, s21, 0xcf800000, s2
	s_cvt_u32_f32 s23, s21
	s_wait_alu 0xfffe
	s_delay_alu instid0(SALU_CYCLE_1) | instskip(SKIP_1) | instid1(SALU_CYCLE_2)
	s_cvt_u32_f32 s22, s2
	s_wait_alu 0xfffe
	s_mul_u64 s[26:27], s[24:25], s[22:23]
	s_wait_alu 0xfffe
	s_mul_hi_u32 s29, s22, s27
	s_mul_i32 s28, s22, s27
	s_mul_hi_u32 s2, s22, s26
	s_mul_i32 s30, s23, s26
	s_wait_alu 0xfffe
	s_add_nc_u64 s[28:29], s[2:3], s[28:29]
	s_mul_hi_u32 s21, s23, s26
	s_mul_hi_u32 s31, s23, s27
	s_add_co_u32 s2, s28, s30
	s_wait_alu 0xfffe
	s_add_co_ci_u32 s2, s29, s21
	s_mul_i32 s26, s23, s27
	s_add_co_ci_u32 s27, s31, 0
	s_wait_alu 0xfffe
	s_add_nc_u64 s[26:27], s[2:3], s[26:27]
	s_wait_alu 0xfffe
	v_add_co_u32 v4, s2, s22, s26
	s_delay_alu instid0(VALU_DEP_1) | instskip(SKIP_1) | instid1(VALU_DEP_1)
	s_cmp_lg_u32 s2, 0
	s_add_co_ci_u32 s23, s23, s27
	v_readfirstlane_b32 s22, v4
	s_wait_alu 0xfffe
	s_delay_alu instid0(VALU_DEP_1)
	s_mul_u64 s[24:25], s[24:25], s[22:23]
	s_wait_alu 0xfffe
	s_mul_hi_u32 s27, s22, s25
	s_mul_i32 s26, s22, s25
	s_mul_hi_u32 s2, s22, s24
	s_mul_i32 s28, s23, s24
	s_wait_alu 0xfffe
	s_add_nc_u64 s[26:27], s[2:3], s[26:27]
	s_mul_hi_u32 s21, s23, s24
	s_mul_hi_u32 s22, s23, s25
	s_wait_alu 0xfffe
	s_add_co_u32 s2, s26, s28
	s_add_co_ci_u32 s2, s27, s21
	s_mul_i32 s24, s23, s25
	s_add_co_ci_u32 s25, s22, 0
	s_wait_alu 0xfffe
	s_add_nc_u64 s[24:25], s[2:3], s[24:25]
	s_wait_alu 0xfffe
	v_add_co_u32 v4, s2, v4, s24
	s_delay_alu instid0(VALU_DEP_1) | instskip(SKIP_1) | instid1(VALU_DEP_1)
	s_cmp_lg_u32 s2, 0
	s_add_co_ci_u32 s2, s23, s25
	v_mul_hi_u32 v13, v5, v4
	s_wait_alu 0xfffe
	v_mad_co_u64_u32 v[7:8], null, v5, s2, 0
	v_mad_co_u64_u32 v[9:10], null, v6, v4, 0
	;; [unrolled: 1-line block ×3, first 2 shown]
	s_delay_alu instid0(VALU_DEP_3) | instskip(SKIP_1) | instid1(VALU_DEP_4)
	v_add_co_u32 v4, vcc_lo, v13, v7
	s_wait_alu 0xfffd
	v_add_co_ci_u32_e32 v7, vcc_lo, 0, v8, vcc_lo
	s_delay_alu instid0(VALU_DEP_2) | instskip(SKIP_1) | instid1(VALU_DEP_2)
	v_add_co_u32 v4, vcc_lo, v4, v9
	s_wait_alu 0xfffd
	v_add_co_ci_u32_e32 v4, vcc_lo, v7, v10, vcc_lo
	s_wait_alu 0xfffd
	v_add_co_ci_u32_e32 v7, vcc_lo, 0, v12, vcc_lo
	s_delay_alu instid0(VALU_DEP_2) | instskip(SKIP_1) | instid1(VALU_DEP_2)
	v_add_co_u32 v4, vcc_lo, v4, v11
	s_wait_alu 0xfffd
	v_add_co_ci_u32_e32 v9, vcc_lo, 0, v7, vcc_lo
	s_delay_alu instid0(VALU_DEP_2) | instskip(SKIP_1) | instid1(VALU_DEP_3)
	v_mul_lo_u32 v10, s19, v4
	v_mad_co_u64_u32 v[7:8], null, s18, v4, 0
	v_mul_lo_u32 v11, s18, v9
	s_delay_alu instid0(VALU_DEP_2) | instskip(NEXT) | instid1(VALU_DEP_2)
	v_sub_co_u32 v7, vcc_lo, v5, v7
	v_add3_u32 v8, v8, v11, v10
	s_delay_alu instid0(VALU_DEP_1) | instskip(SKIP_1) | instid1(VALU_DEP_1)
	v_sub_nc_u32_e32 v10, v6, v8
	s_wait_alu 0xfffd
	v_subrev_co_ci_u32_e64 v10, s2, s19, v10, vcc_lo
	v_add_co_u32 v11, s2, v4, 2
	s_wait_alu 0xf1ff
	v_add_co_ci_u32_e64 v12, s2, 0, v9, s2
	v_sub_co_u32 v13, s2, v7, s18
	v_sub_co_ci_u32_e32 v8, vcc_lo, v6, v8, vcc_lo
	s_wait_alu 0xf1ff
	v_subrev_co_ci_u32_e64 v10, s2, 0, v10, s2
	s_delay_alu instid0(VALU_DEP_3) | instskip(NEXT) | instid1(VALU_DEP_3)
	v_cmp_le_u32_e32 vcc_lo, s18, v13
	v_cmp_eq_u32_e64 s2, s19, v8
	s_wait_alu 0xfffd
	v_cndmask_b32_e64 v13, 0, -1, vcc_lo
	v_cmp_le_u32_e32 vcc_lo, s19, v10
	s_wait_alu 0xfffd
	v_cndmask_b32_e64 v14, 0, -1, vcc_lo
	v_cmp_le_u32_e32 vcc_lo, s18, v7
	;; [unrolled: 3-line block ×3, first 2 shown]
	s_wait_alu 0xfffd
	v_cndmask_b32_e64 v15, 0, -1, vcc_lo
	v_cmp_eq_u32_e32 vcc_lo, s19, v10
	s_wait_alu 0xf1ff
	s_delay_alu instid0(VALU_DEP_2)
	v_cndmask_b32_e64 v7, v15, v7, s2
	s_wait_alu 0xfffd
	v_cndmask_b32_e32 v10, v14, v13, vcc_lo
	v_add_co_u32 v13, vcc_lo, v4, 1
	s_wait_alu 0xfffd
	v_add_co_ci_u32_e32 v14, vcc_lo, 0, v9, vcc_lo
	s_delay_alu instid0(VALU_DEP_3) | instskip(SKIP_2) | instid1(VALU_DEP_3)
	v_cmp_ne_u32_e32 vcc_lo, 0, v10
	s_wait_alu 0xfffd
	v_cndmask_b32_e32 v10, v13, v11, vcc_lo
	v_cndmask_b32_e32 v8, v14, v12, vcc_lo
	v_cmp_ne_u32_e32 vcc_lo, 0, v7
	s_wait_alu 0xfffd
	s_delay_alu instid0(VALU_DEP_2)
	v_dual_cndmask_b32 v7, v4, v10 :: v_dual_cndmask_b32 v8, v9, v8
.LBB0_4:                                ;   in Loop: Header=BB0_2 Depth=1
	s_wait_alu 0xfffe
	s_and_not1_saveexec_b32 s2, s20
	s_cbranch_execz .LBB0_6
; %bb.5:                                ;   in Loop: Header=BB0_2 Depth=1
	v_cvt_f32_u32_e32 v4, s18
	s_sub_co_i32 s20, 0, s18
	s_delay_alu instid0(VALU_DEP_1) | instskip(NEXT) | instid1(TRANS32_DEP_1)
	v_rcp_iflag_f32_e32 v4, v4
	v_mul_f32_e32 v4, 0x4f7ffffe, v4
	s_delay_alu instid0(VALU_DEP_1) | instskip(SKIP_1) | instid1(VALU_DEP_1)
	v_cvt_u32_f32_e32 v4, v4
	s_wait_alu 0xfffe
	v_mul_lo_u32 v7, s20, v4
	s_delay_alu instid0(VALU_DEP_1) | instskip(NEXT) | instid1(VALU_DEP_1)
	v_mul_hi_u32 v7, v4, v7
	v_add_nc_u32_e32 v4, v4, v7
	s_delay_alu instid0(VALU_DEP_1) | instskip(NEXT) | instid1(VALU_DEP_1)
	v_mul_hi_u32 v4, v5, v4
	v_mul_lo_u32 v7, v4, s18
	v_add_nc_u32_e32 v8, 1, v4
	s_delay_alu instid0(VALU_DEP_2) | instskip(NEXT) | instid1(VALU_DEP_1)
	v_sub_nc_u32_e32 v7, v5, v7
	v_subrev_nc_u32_e32 v9, s18, v7
	v_cmp_le_u32_e32 vcc_lo, s18, v7
	s_wait_alu 0xfffd
	s_delay_alu instid0(VALU_DEP_2) | instskip(NEXT) | instid1(VALU_DEP_1)
	v_dual_cndmask_b32 v7, v7, v9 :: v_dual_cndmask_b32 v4, v4, v8
	v_cmp_le_u32_e32 vcc_lo, s18, v7
	s_delay_alu instid0(VALU_DEP_2) | instskip(SKIP_1) | instid1(VALU_DEP_1)
	v_add_nc_u32_e32 v8, 1, v4
	s_wait_alu 0xfffd
	v_dual_cndmask_b32 v7, v4, v8 :: v_dual_mov_b32 v8, v3
.LBB0_6:                                ;   in Loop: Header=BB0_2 Depth=1
	s_wait_alu 0xfffe
	s_or_b32 exec_lo, exec_lo, s2
	s_load_b64 s[20:21], s[12:13], 0x0
	s_delay_alu instid0(VALU_DEP_1)
	v_mul_lo_u32 v4, v8, s18
	v_mul_lo_u32 v11, v7, s19
	v_mad_co_u64_u32 v[9:10], null, v7, s18, 0
	s_add_nc_u64 s[14:15], s[14:15], 1
	s_add_nc_u64 s[12:13], s[12:13], 8
	s_wait_alu 0xfffe
	v_cmp_ge_u64_e64 s2, s[14:15], s[6:7]
	s_add_nc_u64 s[16:17], s[16:17], 8
	s_delay_alu instid0(VALU_DEP_2) | instskip(NEXT) | instid1(VALU_DEP_3)
	v_add3_u32 v4, v10, v11, v4
	v_sub_co_u32 v5, vcc_lo, v5, v9
	s_wait_alu 0xfffd
	s_delay_alu instid0(VALU_DEP_2) | instskip(SKIP_3) | instid1(VALU_DEP_2)
	v_sub_co_ci_u32_e32 v4, vcc_lo, v6, v4, vcc_lo
	s_and_b32 vcc_lo, exec_lo, s2
	s_wait_kmcnt 0x0
	v_mul_lo_u32 v6, s21, v5
	v_mul_lo_u32 v4, s20, v4
	v_mad_co_u64_u32 v[1:2], null, s20, v5, v[1:2]
	s_delay_alu instid0(VALU_DEP_1)
	v_add3_u32 v2, v6, v2, v4
	s_wait_alu 0xfffe
	s_cbranch_vccnz .LBB0_9
; %bb.7:                                ;   in Loop: Header=BB0_2 Depth=1
	v_dual_mov_b32 v5, v7 :: v_dual_mov_b32 v6, v8
	s_branch .LBB0_2
.LBB0_8:
	v_dual_mov_b32 v8, v6 :: v_dual_mov_b32 v7, v5
.LBB0_9:
	s_lshl_b64 s[2:3], s[6:7], 3
	v_mul_hi_u32 v4, 0x2aaaaab, v0
	s_wait_alu 0xfffe
	s_add_nc_u64 s[2:3], s[10:11], s[2:3]
	s_load_b64 s[2:3], s[2:3], 0x0
	s_load_b64 s[0:1], s[0:1], 0x20
	s_wait_kmcnt 0x0
	v_mul_lo_u32 v5, s2, v8
	v_mul_lo_u32 v6, s3, v7
	v_mad_co_u64_u32 v[2:3], null, s2, v7, v[1:2]
	v_mul_u32_u24_e32 v1, 0x60, v4
	v_cmp_gt_u64_e32 vcc_lo, s[0:1], v[7:8]
	s_delay_alu instid0(VALU_DEP_2) | instskip(NEXT) | instid1(VALU_DEP_4)
	v_sub_nc_u32_e32 v0, v0, v1
	v_add3_u32 v3, v6, v3, v5
	s_delay_alu instid0(VALU_DEP_2) | instskip(NEXT) | instid1(VALU_DEP_2)
	v_dual_mov_b32 v1, 0 :: v_dual_mov_b32 v44, v0
	v_lshlrev_b64_e32 v[46:47], 3, v[2:3]
	s_and_saveexec_b32 s1, vcc_lo
	s_cbranch_execz .LBB0_13
; %bb.10:
	s_delay_alu instid0(VALU_DEP_2) | instskip(NEXT) | instid1(VALU_DEP_2)
	v_lshlrev_b64_e32 v[4:5], 3, v[0:1]
	v_add_co_u32 v2, s0, s8, v46
	s_wait_alu 0xf1ff
	v_add_co_ci_u32_e64 v3, s0, s9, v47, s0
	v_lshl_add_u32 v68, v0, 3, 0
	s_delay_alu instid0(VALU_DEP_3) | instskip(SKIP_1) | instid1(VALU_DEP_3)
	v_add_co_u32 v4, s0, v2, v4
	s_wait_alu 0xf1ff
	v_add_co_ci_u32_e64 v5, s0, v3, v5, s0
	v_cmp_eq_u32_e64 s0, 0x5f, v0
	v_add_nc_u32_e32 v69, 0x800, v68
	v_add_nc_u32_e32 v70, 0x1000, v68
	s_clause 0x1d
	global_load_b64 v[6:7], v[4:5], off
	global_load_b64 v[8:9], v[4:5], off offset:768
	global_load_b64 v[10:11], v[4:5], off offset:1536
	global_load_b64 v[12:13], v[4:5], off offset:2304
	global_load_b64 v[14:15], v[4:5], off offset:3072
	global_load_b64 v[16:17], v[4:5], off offset:3840
	global_load_b64 v[18:19], v[4:5], off offset:4608
	global_load_b64 v[20:21], v[4:5], off offset:5376
	global_load_b64 v[22:23], v[4:5], off offset:6144
	global_load_b64 v[24:25], v[4:5], off offset:6912
	global_load_b64 v[26:27], v[4:5], off offset:7680
	global_load_b64 v[28:29], v[4:5], off offset:8448
	global_load_b64 v[30:31], v[4:5], off offset:9216
	global_load_b64 v[32:33], v[4:5], off offset:9984
	global_load_b64 v[34:35], v[4:5], off offset:10752
	global_load_b64 v[36:37], v[4:5], off offset:11520
	global_load_b64 v[38:39], v[4:5], off offset:12288
	global_load_b64 v[40:41], v[4:5], off offset:13056
	global_load_b64 v[42:43], v[4:5], off offset:13824
	global_load_b64 v[44:45], v[4:5], off offset:14592
	global_load_b64 v[48:49], v[4:5], off offset:15360
	global_load_b64 v[50:51], v[4:5], off offset:16128
	global_load_b64 v[52:53], v[4:5], off offset:16896
	global_load_b64 v[54:55], v[4:5], off offset:17664
	global_load_b64 v[56:57], v[4:5], off offset:18432
	global_load_b64 v[58:59], v[4:5], off offset:19200
	global_load_b64 v[60:61], v[4:5], off offset:19968
	global_load_b64 v[62:63], v[4:5], off offset:20736
	global_load_b64 v[64:65], v[4:5], off offset:21504
	global_load_b64 v[66:67], v[4:5], off offset:22272
	v_dual_mov_b32 v5, v1 :: v_dual_mov_b32 v4, v0
	v_add_nc_u32_e32 v1, 0x400, v68
	v_add_nc_u32_e32 v71, 0x1800, v68
	;; [unrolled: 1-line block ×12, first 2 shown]
	s_wait_loadcnt 0x1c
	ds_store_2addr_b64 v68, v[6:7], v[8:9] offset1:96
	s_wait_loadcnt 0x1a
	ds_store_2addr_b64 v1, v[10:11], v[12:13] offset0:64 offset1:160
	s_wait_loadcnt 0x18
	ds_store_2addr_b64 v69, v[14:15], v[16:17] offset0:128 offset1:224
	s_wait_loadcnt 0x16
	ds_store_2addr_b64 v70, v[18:19], v[20:21] offset0:64 offset1:160
	s_wait_loadcnt 0x14
	ds_store_2addr_b64 v71, v[22:23], v[24:25] offset1:96
	s_wait_loadcnt 0x12
	ds_store_2addr_b64 v72, v[26:27], v[28:29] offset0:64 offset1:160
	s_wait_loadcnt 0x10
	ds_store_2addr_b64 v73, v[30:31], v[32:33] offset0:128 offset1:224
	s_wait_loadcnt 0xe
	ds_store_2addr_b64 v74, v[34:35], v[36:37] offset0:64 offset1:160
	;; [unrolled: 8-line block ×3, first 2 shown]
	s_wait_loadcnt 0x4
	ds_store_2addr_b64 v79, v[56:57], v[58:59] offset1:96
	s_wait_loadcnt 0x2
	ds_store_2addr_b64 v80, v[60:61], v[62:63] offset0:64 offset1:160
	s_wait_loadcnt 0x0
	ds_store_2addr_b64 v81, v[64:65], v[66:67] offset0:128 offset1:224
	s_and_saveexec_b32 s2, s0
	s_cbranch_execz .LBB0_12
; %bb.11:
	global_load_b64 v[1:2], v[2:3], off offset:23040
	v_dual_mov_b32 v3, 0 :: v_dual_mov_b32 v4, 0x5f
	v_dual_mov_b32 v5, 0 :: v_dual_mov_b32 v0, 0x5f
	s_wait_loadcnt 0x0
	ds_store_b64 v3, v[1:2] offset:23040
.LBB0_12:
	s_wait_alu 0xfffe
	s_or_b32 exec_lo, exec_lo, s2
	v_mov_b32_e32 v44, v0
	v_dual_mov_b32 v0, v4 :: v_dual_mov_b32 v1, v5
.LBB0_13:
	s_wait_alu 0xfffe
	s_or_b32 exec_lo, exec_lo, s1
	s_delay_alu instid0(VALU_DEP_2)
	v_lshlrev_b32_e32 v2, 3, v44
	global_wb scope:SCOPE_SE
	s_wait_dscnt 0x0
	s_barrier_signal -1
	s_barrier_wait -1
	global_inv scope:SCOPE_SE
	v_add_nc_u32_e32 v62, 0, v2
	v_sub_nc_u32_e32 v6, 0, v2
	v_lshlrev_b64_e32 v[48:49], 3, v[0:1]
	s_mov_b32 s1, exec_lo
	ds_load_b32 v2, v62
	ds_load_b32 v3, v6 offset:23040
	s_wait_dscnt 0x0
	v_dual_sub_f32 v1, v2, v3 :: v_dual_add_f32 v0, v3, v2
	v_cmpx_ne_u32_e32 0, v44
	s_wait_alu 0xfffe
	s_xor_b32 s1, exec_lo, s1
	s_cbranch_execz .LBB0_15
; %bb.14:
	v_add_co_u32 v0, s0, s4, v48
	s_wait_alu 0xf1ff
	v_add_co_ci_u32_e64 v1, s0, s5, v49, s0
	v_dual_add_f32 v7, v3, v2 :: v_dual_sub_f32 v8, v2, v3
	global_load_b64 v[4:5], v[0:1], off offset:22960
	ds_load_b32 v0, v6 offset:23044
	ds_load_b32 v1, v62 offset:4
	s_wait_dscnt 0x0
	v_dual_add_f32 v9, v0, v1 :: v_dual_sub_f32 v0, v1, v0
	s_wait_loadcnt 0x0
	v_fma_f32 v2, -v8, v5, v7
	s_delay_alu instid0(VALU_DEP_2) | instskip(SKIP_2) | instid1(VALU_DEP_4)
	v_fma_f32 v3, v9, v5, -v0
	v_fma_f32 v10, v8, v5, v7
	v_fma_f32 v1, v9, v5, v0
	v_fmac_f32_e32 v2, v4, v9
	s_delay_alu instid0(VALU_DEP_4) | instskip(NEXT) | instid1(VALU_DEP_4)
	v_fmac_f32_e32 v3, v8, v4
	v_fma_f32 v0, -v4, v9, v10
	s_delay_alu instid0(VALU_DEP_4)
	v_fmac_f32_e32 v1, v8, v4
	ds_store_b64 v6, v[2:3] offset:23040
.LBB0_15:
	s_wait_alu 0xfffe
	s_and_not1_saveexec_b32 s0, s1
	s_cbranch_execz .LBB0_17
; %bb.16:
	v_mov_b32_e32 v4, 0
	ds_load_b64 v[2:3], v4 offset:11520
	s_wait_dscnt 0x0
	v_dual_mul_f32 v3, -2.0, v3 :: v_dual_add_f32 v2, v2, v2
	ds_store_b64 v4, v[2:3] offset:11520
.LBB0_17:
	s_wait_alu 0xfffe
	s_or_b32 exec_lo, exec_lo, s0
	v_mov_b32_e32 v45, 0
	s_add_nc_u64 s[0:1], s[4:5], 0x59b0
	v_add_nc_u32_e32 v77, 0x120, v44
	v_add_nc_u16 v78, v44, 0x60
	v_or_b32_e32 v60, 0x180, v44
	v_lshlrev_b64_e32 v[50:51], 3, v[44:45]
	v_add_nc_u32_e32 v64, 0x2000, v62
	v_add_nc_u32_e32 v66, 0x4800, v62
	;; [unrolled: 1-line block ×5, first 2 shown]
	s_wait_alu 0xfffe
	v_add_co_u32 v2, s0, s0, v50
	s_wait_alu 0xf1ff
	v_add_co_ci_u32_e64 v3, s0, s1, v51, s0
	s_clause 0x6
	global_load_b64 v[4:5], v[2:3], off offset:768
	global_load_b64 v[7:8], v[2:3], off offset:1536
	;; [unrolled: 1-line block ×7, first 2 shown]
	ds_store_b64 v62, v[0:1]
	ds_load_b64 v[0:1], v62 offset:768
	ds_load_b64 v[19:20], v6 offset:22272
	global_load_b64 v[21:22], v[2:3], off offset:6144
	v_cmp_gt_u32_e64 s0, 60, v44
	v_add_nc_u32_e32 v74, 0x3000, v62
	v_add_nc_u32_e32 v76, 0x5000, v62
	v_and_b32_e32 v92, 0xff, v78
	s_wait_dscnt 0x0
	v_dual_add_f32 v23, v0, v19 :: v_dual_and_b32 v86, 0xffff, v77
	v_add_f32_e32 v24, v20, v1
	v_dual_sub_f32 v25, v0, v19 :: v_dual_sub_f32 v0, v1, v20
	s_wait_loadcnt 0x7
	s_delay_alu instid0(VALU_DEP_1) | instskip(NEXT) | instid1(VALU_DEP_2)
	v_fma_f32 v26, v25, v5, v23
	v_fma_f32 v1, v24, v5, v0
	v_fma_f32 v19, -v25, v5, v23
	v_fma_f32 v20, v24, v5, -v0
	s_delay_alu instid0(VALU_DEP_4) | instskip(NEXT) | instid1(VALU_DEP_4)
	v_fma_f32 v0, -v4, v24, v26
	v_fmac_f32_e32 v1, v25, v4
	s_delay_alu instid0(VALU_DEP_4) | instskip(NEXT) | instid1(VALU_DEP_4)
	v_fmac_f32_e32 v19, v4, v24
	v_fmac_f32_e32 v20, v25, v4
	ds_store_b64 v62, v[0:1] offset:768
	ds_store_b64 v6, v[19:20] offset:22272
	ds_load_b64 v[0:1], v62 offset:1536
	ds_load_b64 v[4:5], v6 offset:21504
	global_load_b64 v[19:20], v[2:3], off offset:6912
	s_wait_dscnt 0x0
	v_dual_add_f32 v23, v0, v4 :: v_dual_add_f32 v24, v5, v1
	v_dual_sub_f32 v25, v0, v4 :: v_dual_sub_f32 v0, v1, v5
	s_wait_loadcnt 0x7
	s_delay_alu instid0(VALU_DEP_1) | instskip(NEXT) | instid1(VALU_DEP_2)
	v_fma_f32 v26, v25, v8, v23
	v_fma_f32 v1, v24, v8, v0
	v_fma_f32 v4, -v25, v8, v23
	v_fma_f32 v5, v24, v8, -v0
	s_delay_alu instid0(VALU_DEP_4) | instskip(NEXT) | instid1(VALU_DEP_3)
	v_fma_f32 v0, -v7, v24, v26
	v_dual_fmac_f32 v1, v25, v7 :: v_dual_fmac_f32 v4, v7, v24
	s_delay_alu instid0(VALU_DEP_3)
	v_fmac_f32_e32 v5, v25, v7
	ds_store_b64 v62, v[0:1] offset:1536
	ds_store_b64 v6, v[4:5] offset:21504
	ds_load_b64 v[0:1], v62 offset:2304
	ds_load_b64 v[4:5], v6 offset:20736
	global_load_b64 v[7:8], v[2:3], off offset:7680
	s_wait_dscnt 0x0
	v_dual_add_f32 v23, v0, v4 :: v_dual_add_f32 v24, v5, v1
	v_dual_sub_f32 v25, v0, v4 :: v_dual_sub_f32 v0, v1, v5
	s_wait_loadcnt 0x7
	s_delay_alu instid0(VALU_DEP_1) | instskip(NEXT) | instid1(VALU_DEP_2)
	v_fma_f32 v26, v25, v10, v23
	v_fma_f32 v1, v24, v10, v0
	v_fma_f32 v4, -v25, v10, v23
	v_fma_f32 v5, v24, v10, -v0
	s_delay_alu instid0(VALU_DEP_4) | instskip(NEXT) | instid1(VALU_DEP_4)
	v_fma_f32 v0, -v9, v24, v26
	v_fmac_f32_e32 v1, v25, v9
	s_delay_alu instid0(VALU_DEP_4) | instskip(NEXT) | instid1(VALU_DEP_4)
	v_fmac_f32_e32 v4, v9, v24
	v_fmac_f32_e32 v5, v25, v9
	ds_store_b64 v62, v[0:1] offset:2304
	ds_store_b64 v6, v[4:5] offset:20736
	ds_load_b64 v[0:1], v62 offset:3072
	ds_load_b64 v[4:5], v6 offset:19968
	global_load_b64 v[9:10], v[2:3], off offset:8448
	s_wait_dscnt 0x0
	v_dual_add_f32 v23, v0, v4 :: v_dual_add_f32 v24, v5, v1
	v_dual_sub_f32 v25, v0, v4 :: v_dual_sub_f32 v0, v1, v5
	s_wait_loadcnt 0x7
	s_delay_alu instid0(VALU_DEP_1) | instskip(NEXT) | instid1(VALU_DEP_2)
	v_fma_f32 v26, v25, v12, v23
	v_fma_f32 v1, v24, v12, v0
	v_fma_f32 v4, -v25, v12, v23
	v_fma_f32 v5, v24, v12, -v0
	s_delay_alu instid0(VALU_DEP_4) | instskip(NEXT) | instid1(VALU_DEP_3)
	v_fma_f32 v0, -v11, v24, v26
	v_dual_fmac_f32 v1, v25, v11 :: v_dual_fmac_f32 v4, v11, v24
	s_delay_alu instid0(VALU_DEP_3)
	v_fmac_f32_e32 v5, v25, v11
	ds_store_b64 v62, v[0:1] offset:3072
	ds_store_b64 v6, v[4:5] offset:19968
	ds_load_b64 v[0:1], v62 offset:3840
	ds_load_b64 v[4:5], v6 offset:19200
	global_load_b64 v[11:12], v[2:3], off offset:9216
	s_wait_dscnt 0x0
	v_dual_add_f32 v23, v0, v4 :: v_dual_add_f32 v24, v5, v1
	v_dual_sub_f32 v25, v0, v4 :: v_dual_sub_f32 v0, v1, v5
	s_wait_loadcnt 0x7
	s_delay_alu instid0(VALU_DEP_1) | instskip(NEXT) | instid1(VALU_DEP_2)
	v_fma_f32 v26, v25, v14, v23
	v_fma_f32 v1, v24, v14, v0
	v_fma_f32 v4, -v25, v14, v23
	v_fma_f32 v5, v24, v14, -v0
	s_delay_alu instid0(VALU_DEP_4) | instskip(NEXT) | instid1(VALU_DEP_4)
	v_fma_f32 v0, -v13, v24, v26
	v_fmac_f32_e32 v1, v25, v13
	s_delay_alu instid0(VALU_DEP_4) | instskip(NEXT) | instid1(VALU_DEP_4)
	v_fmac_f32_e32 v4, v13, v24
	v_fmac_f32_e32 v5, v25, v13
	ds_store_b64 v62, v[0:1] offset:3840
	ds_store_b64 v6, v[4:5] offset:19200
	ds_load_b64 v[0:1], v62 offset:4608
	ds_load_b64 v[4:5], v6 offset:18432
	global_load_b64 v[13:14], v[2:3], off offset:9984
	s_wait_dscnt 0x0
	v_dual_add_f32 v23, v0, v4 :: v_dual_add_f32 v24, v5, v1
	v_dual_sub_f32 v25, v0, v4 :: v_dual_sub_f32 v0, v1, v5
	s_wait_loadcnt 0x7
	s_delay_alu instid0(VALU_DEP_1) | instskip(NEXT) | instid1(VALU_DEP_2)
	v_fma_f32 v26, v25, v16, v23
	v_fma_f32 v1, v24, v16, v0
	v_fma_f32 v4, -v25, v16, v23
	v_fma_f32 v5, v24, v16, -v0
	s_delay_alu instid0(VALU_DEP_4) | instskip(NEXT) | instid1(VALU_DEP_3)
	v_fma_f32 v0, -v15, v24, v26
	v_dual_fmac_f32 v1, v25, v15 :: v_dual_fmac_f32 v4, v15, v24
	s_delay_alu instid0(VALU_DEP_3)
	v_fmac_f32_e32 v5, v25, v15
	ds_store_b64 v62, v[0:1] offset:4608
	ds_store_b64 v6, v[4:5] offset:18432
	ds_load_b64 v[4:5], v62 offset:5376
	ds_load_b64 v[15:16], v6 offset:17664
	global_load_b64 v[0:1], v[2:3], off offset:10752
	s_wait_dscnt 0x0
	v_add_f32_e32 v2, v4, v15
	v_add_f32_e32 v23, v16, v5
	v_sub_f32_e32 v15, v4, v15
	v_sub_f32_e32 v5, v5, v16
	s_wait_loadcnt 0x7
	s_delay_alu instid0(VALU_DEP_2) | instskip(NEXT) | instid1(VALU_DEP_2)
	v_fma_f32 v16, v15, v18, v2
	v_fma_f32 v3, v23, v18, v5
	v_fma_f32 v4, -v15, v18, v2
	v_fma_f32 v5, v23, v18, -v5
	s_delay_alu instid0(VALU_DEP_4) | instskip(NEXT) | instid1(VALU_DEP_3)
	v_fma_f32 v2, -v17, v23, v16
	v_dual_fmac_f32 v3, v15, v17 :: v_dual_fmac_f32 v4, v17, v23
	s_delay_alu instid0(VALU_DEP_3)
	v_fmac_f32_e32 v5, v15, v17
	ds_store_b64 v62, v[2:3] offset:5376
	ds_store_b64 v6, v[4:5] offset:17664
	ds_load_b64 v[2:3], v62 offset:6144
	ds_load_b64 v[4:5], v6 offset:16896
	s_wait_dscnt 0x0
	v_dual_add_f32 v15, v2, v4 :: v_dual_add_f32 v16, v5, v3
	v_dual_sub_f32 v17, v2, v4 :: v_dual_sub_f32 v2, v3, v5
	s_wait_loadcnt 0x6
	s_delay_alu instid0(VALU_DEP_1) | instskip(NEXT) | instid1(VALU_DEP_2)
	v_fma_f32 v18, v17, v22, v15
	v_fma_f32 v3, v16, v22, v2
	v_fma_f32 v4, -v17, v22, v15
	v_fma_f32 v5, v16, v22, -v2
	s_delay_alu instid0(VALU_DEP_4) | instskip(NEXT) | instid1(VALU_DEP_4)
	v_fma_f32 v2, -v21, v16, v18
	v_fmac_f32_e32 v3, v17, v21
	s_delay_alu instid0(VALU_DEP_4) | instskip(NEXT) | instid1(VALU_DEP_4)
	v_fmac_f32_e32 v4, v21, v16
	v_fmac_f32_e32 v5, v17, v21
	ds_store_b64 v62, v[2:3] offset:6144
	ds_store_b64 v6, v[4:5] offset:16896
	ds_load_b64 v[2:3], v62 offset:6912
	ds_load_b64 v[4:5], v6 offset:16128
	s_wait_dscnt 0x0
	v_dual_add_f32 v15, v2, v4 :: v_dual_add_f32 v16, v5, v3
	v_dual_sub_f32 v17, v2, v4 :: v_dual_sub_f32 v2, v3, v5
	s_wait_loadcnt 0x5
	s_delay_alu instid0(VALU_DEP_1) | instskip(NEXT) | instid1(VALU_DEP_2)
	v_fma_f32 v18, v17, v20, v15
	v_fma_f32 v3, v16, v20, v2
	v_fma_f32 v4, -v17, v20, v15
	v_fma_f32 v5, v16, v20, -v2
	s_delay_alu instid0(VALU_DEP_4) | instskip(NEXT) | instid1(VALU_DEP_3)
	v_fma_f32 v2, -v19, v16, v18
	v_dual_fmac_f32 v3, v17, v19 :: v_dual_fmac_f32 v4, v19, v16
	s_delay_alu instid0(VALU_DEP_3)
	v_fmac_f32_e32 v5, v17, v19
	ds_store_b64 v62, v[2:3] offset:6912
	ds_store_b64 v6, v[4:5] offset:16128
	ds_load_b64 v[2:3], v62 offset:7680
	ds_load_b64 v[4:5], v6 offset:15360
	s_wait_dscnt 0x0
	v_dual_add_f32 v15, v2, v4 :: v_dual_add_f32 v16, v5, v3
	v_dual_sub_f32 v17, v2, v4 :: v_dual_sub_f32 v2, v3, v5
	s_wait_loadcnt 0x4
	s_delay_alu instid0(VALU_DEP_1) | instskip(NEXT) | instid1(VALU_DEP_2)
	v_fma_f32 v18, v17, v8, v15
	v_fma_f32 v3, v16, v8, v2
	v_fma_f32 v4, -v17, v8, v15
	v_fma_f32 v5, v16, v8, -v2
	s_delay_alu instid0(VALU_DEP_4) | instskip(NEXT) | instid1(VALU_DEP_3)
	v_fma_f32 v2, -v7, v16, v18
	v_dual_fmac_f32 v3, v17, v7 :: v_dual_fmac_f32 v4, v7, v16
	s_delay_alu instid0(VALU_DEP_3)
	;; [unrolled: 18-line block ×4, first 2 shown]
	v_fmac_f32_e32 v5, v9, v11
	ds_store_b64 v62, v[2:3] offset:9216
	ds_store_b64 v6, v[4:5] offset:13824
	ds_load_b64 v[2:3], v62 offset:9984
	ds_load_b64 v[4:5], v6 offset:13056
	s_wait_dscnt 0x0
	v_dual_add_f32 v7, v2, v4 :: v_dual_add_f32 v8, v5, v3
	v_dual_sub_f32 v9, v2, v4 :: v_dual_sub_f32 v2, v3, v5
	s_wait_loadcnt 0x1
	s_delay_alu instid0(VALU_DEP_1) | instskip(NEXT) | instid1(VALU_DEP_2)
	v_fma_f32 v10, v9, v14, v7
	v_fma_f32 v3, v8, v14, v2
	v_fma_f32 v4, -v9, v14, v7
	v_fma_f32 v5, v8, v14, -v2
	s_delay_alu instid0(VALU_DEP_4) | instskip(NEXT) | instid1(VALU_DEP_4)
	v_fma_f32 v2, -v13, v8, v10
	v_fmac_f32_e32 v3, v9, v13
	s_delay_alu instid0(VALU_DEP_4) | instskip(NEXT) | instid1(VALU_DEP_4)
	v_fmac_f32_e32 v4, v13, v8
	v_fmac_f32_e32 v5, v9, v13
	ds_store_b64 v62, v[2:3] offset:9984
	ds_store_b64 v6, v[4:5] offset:13056
	ds_load_b64 v[2:3], v62 offset:10752
	ds_load_b64 v[4:5], v6 offset:12288
	s_wait_dscnt 0x0
	v_dual_add_f32 v7, v2, v4 :: v_dual_add_f32 v8, v5, v3
	v_dual_sub_f32 v9, v2, v4 :: v_dual_sub_f32 v4, v3, v5
	v_mul_u32_u24_e32 v5, 10, v44
	s_wait_loadcnt 0x0
	s_delay_alu instid0(VALU_DEP_2) | instskip(NEXT) | instid1(VALU_DEP_3)
	v_fma_f32 v10, v9, v1, v7
	v_fma_f32 v2, v8, v1, v4
	v_fma_f32 v3, -v9, v1, v7
	v_fma_f32 v4, v8, v1, -v4
	v_add_nc_u32_e32 v63, 0x1000, v62
	v_fma_f32 v1, -v0, v8, v10
	v_dual_fmac_f32 v2, v9, v0 :: v_dual_add_nc_u32 v69, 0x3400, v62
	s_delay_alu instid0(VALU_DEP_4)
	v_fmac_f32_e32 v4, v9, v0
	v_fmac_f32_e32 v3, v0, v8
	ds_store_b64 v62, v[1:2] offset:10752
	ds_store_b64 v6, v[3:4] offset:12288
	global_wb scope:SCOPE_SE
	s_wait_dscnt 0x0
	s_barrier_signal -1
	s_barrier_wait -1
	global_inv scope:SCOPE_SE
	global_wb scope:SCOPE_SE
	s_barrier_signal -1
	s_barrier_wait -1
	global_inv scope:SCOPE_SE
	ds_load_2addr_b64 v[0:3], v62 offset1:96
	ds_load_2addr_b64 v[31:34], v63 offset0:64 offset1:160
	ds_load_2addr_b64 v[80:83], v64 offset0:128 offset1:224
	;; [unrolled: 1-line block ×3, first 2 shown]
	ds_load_2addr_b64 v[12:15], v66 offset1:96
	v_add_nc_u32_e32 v65, 0x400, v62
	v_and_b32_e32 v7, 0xff, v44
	v_add_nc_u32_e32 v67, 0x2800, v62
	v_add_nc_u32_e32 v71, 0x4c00, v62
	;; [unrolled: 1-line block ×4, first 2 shown]
	v_lshl_add_u32 v28, v5, 3, 0
	v_mul_lo_u16 v84, 0xcd, v7
	v_and_b32_e32 v79, 0xffff, v60
	s_delay_alu instid0(VALU_DEP_3)
	v_add_nc_u32_e32 v29, 0x1e00, v28
	v_add_nc_u32_e32 v30, 0x1e10, v28
	s_wait_dscnt 0x3
	v_add_f32_e32 v94, v1, v32
	s_wait_dscnt 0x2
	v_sub_f32_e32 v98, v80, v31
	s_wait_dscnt 0x1
	v_sub_f32_e32 v36, v80, v87
	;; [unrolled: 2-line block ×3, first 2 shown]
	v_sub_f32_e32 v52, v31, v12
	v_sub_f32_e32 v144, v13, v88
	ds_load_2addr_b64 v[4:7], v65 offset0:64 offset1:160
	ds_load_2addr_b64 v[56:59], v68 offset1:96
	ds_load_2addr_b64 v[119:122], v67 offset0:64 offset1:160
	ds_load_2addr_b64 v[135:138], v70 offset0:128 offset1:224
	;; [unrolled: 1-line block ×5, first 2 shown]
	ds_load_2addr_b64 v[125:128], v74 offset1:96
	ds_load_2addr_b64 v[24:27], v75 offset0:64 offset1:160
	ds_load_2addr_b64 v[16:19], v76 offset0:128 offset1:224
	v_add_nc_u32_e32 v61, 0xc0, v44
	v_dual_add_f32 v91, v0, v31 :: v_dual_add_f32 v100, v3, v34
	v_dual_sub_f32 v42, v32, v13 :: v_dual_sub_f32 v35, v81, v88
	v_dual_add_f32 v156, v34, v15 :: v_dual_sub_f32 v93, v31, v80
	v_sub_f32_e32 v40, v33, v14
	v_dual_add_f32 v106, v31, v12 :: v_dual_sub_f32 v143, v32, v81
	v_add_f32_e32 v107, v32, v13
	s_wait_dscnt 0x7
	v_dual_sub_f32 v145, v81, v32 :: v_dual_sub_f32 v164, v120, v57
	v_dual_add_f32 v31, v6, v58 :: v_dual_add_f32 v32, v7, v59
	v_add_f32_e32 v95, v2, v33
	v_sub_f32_e32 v38, v34, v15
	s_wait_dscnt 0x1
	v_dual_sub_f32 v155, v34, v83 :: v_dual_add_f32 v124, v125, v24
	v_dual_sub_f32 v157, v83, v34 :: v_dual_add_f32 v34, v5, v57
	v_add_f32_e32 v102, v80, v87
	v_dual_sub_f32 v96, v12, v87 :: v_dual_add_f32 v105, v81, v88
	v_dual_add_f32 v158, v83, v90 :: v_dual_sub_f32 v147, v58, v121
	v_add_f32_e32 v116, v56, v20
	v_dual_sub_f32 v148, v121, v58 :: v_dual_and_b32 v85, 0xffff, v61
	v_dual_add_f32 v110, v33, v14 :: v_dual_add_f32 v109, v82, v89
	v_sub_f32_e32 v168, v137, v22
	v_dual_sub_f32 v39, v83, v90 :: v_dual_sub_f32 v174, v136, v21
	v_dual_sub_f32 v151, v33, v82 :: v_dual_sub_f32 v172, v135, v20
	v_dual_sub_f32 v153, v82, v33 :: v_dual_add_f32 v104, v11, v142
	v_dual_sub_f32 v53, v82, v89 :: v_dual_add_f32 v80, v91, v80
	v_add_f32_e32 v33, v4, v56
	v_dual_sub_f32 v161, v56, v119 :: v_dual_add_f32 v34, v34, v120
	v_sub_f32_e32 v162, v119, v56
	v_dual_sub_f32 v99, v59, v23 :: v_dual_add_f32 v32, v32, v122
	v_dual_sub_f32 v43, v56, v20 :: v_dual_sub_f32 v56, v119, v135
	v_add_f32_e32 v101, v9, v140
	v_dual_add_f32 v81, v94, v81 :: v_dual_add_f32 v82, v95, v82
	v_dual_add_f32 v83, v100, v83 :: v_dual_add_f32 v112, v93, v96
	v_dual_sub_f32 v113, v87, v12 :: v_dual_sub_f32 v160, v90, v15
	v_sub_f32_e32 v146, v88, v13
	v_dual_add_f32 v108, v121, v137 :: v_dual_sub_f32 v37, v122, v138
	v_dual_add_f32 v118, v59, v23 :: v_dual_add_f32 v111, v122, v138
	v_sub_f32_e32 v54, v57, v21
	v_dual_sub_f32 v55, v121, v137 :: v_dual_add_f32 v166, v120, v136
	v_dual_sub_f32 v149, v59, v122 :: v_dual_sub_f32 v170, v138, v23
	v_sub_f32_e32 v150, v122, v59
	v_dual_sub_f32 v152, v14, v89 :: v_dual_sub_f32 v159, v15, v90
	v_sub_f32_e32 v94, v125, v24
	v_dual_add_f32 v114, v119, v135 :: v_dual_sub_f32 v41, v120, v136
	v_dual_add_f32 v130, v127, v26 :: v_dual_sub_f32 v163, v57, v120
	v_sub_f32_e32 v176, v140, v126
	v_dual_add_f32 v117, v58, v22 :: v_dual_sub_f32 v178, v141, v127
	v_dual_sub_f32 v97, v58, v22 :: v_dual_add_f32 v120, v80, v87
	v_add_f32_e32 v165, v57, v21
	v_dual_sub_f32 v167, v22, v137 :: v_dual_add_f32 v132, v101, v126
	v_dual_sub_f32 v169, v23, v138 :: v_dual_add_f32 v134, v104, v128
	s_wait_dscnt 0x0
	v_dual_sub_f32 v173, v21, v136 :: v_dual_sub_f32 v104, v140, v17
	v_add_f32_e32 v57, v8, v139
	v_add_f32_e32 v103, v10, v141
	v_sub_f32_e32 v58, v126, v25
	v_dual_sub_f32 v175, v139, v125 :: v_dual_sub_f32 v100, v141, v18
	v_add_f32_e32 v129, v126, v25
	v_dual_add_f32 v31, v31, v121 :: v_dual_add_nc_u32 v96, 0x3c30, v28
	v_sub_f32_e32 v177, v126, v140
	v_dual_sub_f32 v59, v128, v27 :: v_dual_add_f32 v122, v82, v89
	v_add_f32_e32 v123, v83, v90
	v_dual_sub_f32 v89, v127, v141 :: v_dual_add_f32 v82, v128, v27
	v_add_f32_e32 v126, v32, v138
	v_add_nc_u32_e32 v32, 0x1e30, v28
	v_add_f32_e32 v121, v81, v88
	v_lshrrev_b16 v80, 11, v84
	v_sub_f32_e32 v88, v16, v24
	v_dual_sub_f32 v87, v128, v142 :: v_dual_sub_f32 v90, v17, v25
	v_sub_f32_e32 v179, v142, v128
	v_add_f32_e32 v128, v34, v136
	v_add_f32_e32 v136, v141, v18
	v_fma_f32 v102, -0.5, v102, v0
	v_add_f32_e32 v33, v33, v119
	v_dual_add_f32 v83, v142, v19 :: v_dual_add_f32 v138, v145, v146
	v_mul_lo_u16 v81, 0xcd, v92
	v_mul_u32_u24_e32 v84, 0xcccd, v85
	v_add_f32_e32 v146, v176, v90
	v_mul_lo_u16 v90, v80, 10
	v_sub_f32_e32 v119, v27, v19
	v_fma_f32 v118, -0.5, v118, v7
	v_add_f32_e32 v145, v175, v88
	v_mul_u32_u24_e32 v88, 0xcccd, v79
	v_fma_f32 v130, -0.5, v130, v10
	v_fma_f32 v10, -0.5, v136, v10
	;; [unrolled: 1-line block ×3, first 2 shown]
	v_dual_fmamk_f32 v114, v42, 0xbf737871, v102 :: v_dual_add_f32 v131, v57, v125
	v_add_f32_e32 v115, v98, v113
	v_mul_u32_u24_e32 v113, 0xcccd, v86
	v_dual_sub_f32 v171, v20, v135 :: v_dual_add_f32 v180, v139, v16
	v_dual_sub_f32 v91, v125, v139 :: v_dual_add_nc_u32 v34, 0x3c00, v28
	v_sub_f32_e32 v95, v127, v26
	v_add_f32_e32 v133, v103, v127
	v_sub_f32_e32 v103, v139, v16
	v_dual_add_f32 v127, v33, v135 :: v_dual_add_nc_u32 v98, 0x3c40, v28
	v_add_f32_e32 v135, v140, v17
	v_add_f32_e32 v140, v148, v168
	v_lshrrev_b16 v81, 11, v81
	v_dual_add_f32 v148, v87, v119 :: v_dual_sub_f32 v87, v24, v16
	v_fmac_f32_e32 v102, 0x3f737871, v42
	v_fma_f32 v117, -0.5, v117, v6
	v_add_f32_e32 v139, v147, v167
	v_fma_f32 v147, -0.5, v82, v11
	v_fmac_f32_e32 v11, -0.5, v83
	v_lshrrev_b32_e32 v82, 19, v84
	v_lshrrev_b32_e32 v83, 19, v88
	;; [unrolled: 1-line block ×3, first 2 shown]
	v_sub_nc_u16 v88, v44, v90
	v_sub_f32_e32 v90, v25, v17
	v_add_f32_e32 v125, v31, v137
	v_add_nc_u32_e32 v31, 0x1e20, v28
	v_add_f32_e32 v137, v143, v144
	v_mul_lo_u16 v113, v83, 10
	v_fma_f32 v106, -0.5, v106, v0
	v_add_f32_e32 v141, v149, v169
	v_add_f32_e32 v143, v151, v152
	v_fma_f32 v108, -0.5, v108, v6
	v_add_f32_e32 v151, v177, v90
	v_mul_lo_u16 v90, v82, 10
	v_fma_f32 v105, -0.5, v105, v1
	v_dual_add_f32 v149, v157, v160 :: v_dual_sub_f32 v160, v19, v27
	v_sub_f32_e32 v101, v142, v19
	v_add_f32_e32 v142, v150, v170
	v_add_f32_e32 v150, v91, v87
	v_mul_lo_u16 v87, v84, 10
	v_add_f32_e32 v160, v179, v160
	v_mul_lo_u16 v91, v81, 10
	v_fma_f32 v119, -0.5, v158, v3
	v_fmac_f32_e32 v3, -0.5, v156
	v_sub_nc_u16 v113, v60, v113
	v_and_b32_e32 v88, 0xff, v88
	v_dual_sub_f32 v156, v26, v18 :: v_dual_add_nc_u32 v57, 0x3c10, v28
	v_sub_nc_u16 v157, v77, v87
	v_sub_nc_u16 v90, v61, v90
	;; [unrolled: 1-line block ×3, first 2 shown]
	v_sub_f32_e32 v158, v18, v26
	v_fma_f32 v107, -0.5, v107, v1
	v_fma_f32 v124, -0.5, v124, v8
	;; [unrolled: 1-line block ×6, first 2 shown]
	v_add_f32_e32 v4, v133, v26
	v_dual_add_f32 v0, v131, v24 :: v_dual_add_f32 v1, v132, v25
	v_add_f32_e32 v6, v134, v27
	v_fmamk_f32 v24, v35, 0x3f737871, v106
	v_fmamk_f32 v26, v37, 0x3f737871, v117
	;; [unrolled: 1-line block ×3, first 2 shown]
	v_fmac_f32_e32 v118, 0x3f737871, v55
	v_dual_add_f32 v144, v155, v159 :: v_dual_add_nc_u32 v93, 0x3c20, v28
	v_fma_f32 v152, -0.5, v166, v5
	v_fmac_f32_e32 v5, -0.5, v165
	v_dual_add_f32 v4, v4, v18 :: v_dual_and_b32 v87, 0xffff, v113
	v_add_f32_e32 v156, v89, v156
	v_mul_u32_u24_e32 v113, 5, v88
	v_and_b32_e32 v90, 0xffff, v90
	v_fma_f32 v111, -0.5, v111, v7
	v_fma_f32 v129, -0.5, v129, v9
	;; [unrolled: 1-line block ×3, first 2 shown]
	v_dual_fmac_f32 v106, 0xbf737871, v35 :: v_dual_add_f32 v7, v120, v12
	v_fmac_f32_e32 v24, 0xbf167918, v42
	v_add_f32_e32 v8, v121, v13
	v_dual_add_f32 v12, v122, v14 :: v_dual_add_f32 v13, v123, v15
	s_delay_alu instid0(VALU_DEP_4)
	v_fmac_f32_e32 v106, 0x3f167918, v42
	v_dual_add_f32 v9, v125, v22 :: v_dual_fmac_f32 v26, 0xbf167918, v99
	v_fmamk_f32 v125, v40, 0x3f737871, v119
	v_fmac_f32_e32 v119, 0xbf737871, v40
	v_dual_add_f32 v15, v0, v16 :: v_dual_fmac_f32 v118, 0xbf167918, v97
	v_and_b32_e32 v89, 0xffff, v157
	v_dual_add_f32 v157, v161, v171 :: v_dual_fmamk_f32 v18, v104, 0xbf737871, v124
	v_fmac_f32_e32 v124, 0x3f737871, v104
	v_dual_add_f32 v16, v1, v17 :: v_dual_and_b32 v91, 0xff, v91
	v_dual_add_f32 v155, v164, v174 :: v_dual_add_f32 v20, v127, v20
	v_dual_fmamk_f32 v122, v38, 0xbf737871, v109 :: v_dual_lshlrev_b32 v113, 3, v113
	v_fmamk_f32 v116, v52, 0x3f737871, v105
	v_dual_fmac_f32 v105, 0xbf737871, v52 :: v_dual_fmamk_f32 v120, v99, 0xbf737871, v108
	v_dual_add_f32 v161, v163, v173 :: v_dual_add_f32 v14, v126, v23
	v_fmamk_f32 v126, v53, 0xbf737871, v3
	v_fmac_f32_e32 v109, 0x3f737871, v38
	v_dual_add_f32 v17, v6, v19 :: v_dual_fmac_f32 v116, 0x3f167918, v36
	v_fmac_f32_e32 v3, 0x3f737871, v53
	v_fmac_f32_e32 v18, 0xbf167918, v58
	v_add_f32_e32 v0, v7, v9
	v_sub_f32_e32 v6, v7, v9
	v_fmac_f32_e32 v119, 0xbf167918, v53
	v_dual_add_f32 v9, v13, v16 :: v_dual_fmac_f32 v106, 0x3e9e377a, v115
	v_dual_sub_f32 v13, v13, v16 :: v_dual_fmac_f32 v118, 0x3e9e377a, v142
	v_fmamk_f32 v23, v95, 0xbf737871, v11
	v_fmamk_f32 v25, v36, 0xbf737871, v107
	v_fmac_f32_e32 v107, 0x3f737871, v36
	v_dual_add_f32 v21, v128, v21 :: v_dual_fmamk_f32 v128, v41, 0x3f737871, v110
	v_dual_fmac_f32 v105, 0xbf167918, v36 :: v_dual_fmac_f32 v122, 0xbf167918, v39
	v_fmamk_f32 v36, v59, 0x3f737871, v10
	v_dual_fmac_f32 v109, 0x3f167918, v39 :: v_dual_fmac_f32 v126, 0x3f167918, v40
	v_sub_f32_e32 v16, v20, v4
	v_dual_fmac_f32 v3, 0xbf167918, v40 :: v_dual_fmac_f32 v128, 0xbf167918, v54
	v_dual_fmac_f32 v119, 0x3e9e377a, v144 :: v_dual_fmac_f32 v18, 0x3e9e377a, v145
	v_mul_f32_e32 v40, 0xbf737871, v118
	v_fmac_f32_e32 v23, 0x3f167918, v100
	v_fmamk_f32 v121, v97, 0x3f737871, v111
	v_dual_add_f32 v153, v153, v154 :: v_dual_fmamk_f32 v22, v103, 0x3f737871, v129
	v_add_f32_e32 v159, v162, v172
	s_delay_alu instid0(VALU_DEP_4)
	v_fmac_f32_e32 v23, 0x3e9e377a, v148
	v_fmamk_f32 v127, v54, 0xbf737871, v136
	v_fmac_f32_e32 v136, 0x3f737871, v54
	v_dual_fmac_f32 v107, 0xbf167918, v52 :: v_dual_fmac_f32 v114, 0xbf167918, v35
	v_fmac_f32_e32 v111, 0xbf737871, v97
	v_fmamk_f32 v123, v39, 0x3f737871, v2
	v_fmac_f32_e32 v2, 0xbf737871, v39
	v_fmamk_f32 v42, v94, 0xbf737871, v135
	v_fmac_f32_e32 v110, 0xbf737871, v41
	v_dual_fmac_f32 v25, 0x3f167918, v52 :: v_dual_fmac_f32 v102, 0x3f167918, v35
	s_delay_alu instid0(VALU_DEP_4)
	v_dual_fmac_f32 v27, 0x3f167918, v97 :: v_dual_fmac_f32 v2, 0x3f167918, v38
	v_dual_fmac_f32 v107, 0x3e9e377a, v138 :: v_dual_fmac_f32 v116, 0x3e9e377a, v137
	v_fmamk_f32 v35, v101, 0xbf737871, v130
	v_fmac_f32_e32 v130, 0x3f737871, v101
	v_dual_fmac_f32 v121, 0x3f167918, v55 :: v_dual_fmac_f32 v124, 0x3f167918, v58
	v_fmac_f32_e32 v120, 0xbf167918, v37
	v_dual_fmac_f32 v125, 0x3f167918, v53 :: v_dual_fmac_f32 v22, 0x3f167918, v94
	s_delay_alu instid0(VALU_DEP_4)
	v_dual_fmac_f32 v130, 0x3f167918, v59 :: v_dual_add_f32 v1, v8, v14
	v_dual_sub_f32 v7, v8, v14 :: v_dual_fmac_f32 v24, 0x3e9e377a, v115
	v_add_f32_e32 v8, v12, v15
	v_sub_f32_e32 v12, v12, v15
	v_fmac_f32_e32 v111, 0xbf167918, v55
	v_dual_fmac_f32 v27, 0x3e9e377a, v142 :: v_dual_fmac_f32 v120, 0x3e9e377a, v139
	v_dual_fmac_f32 v121, 0x3e9e377a, v141 :: v_dual_fmac_f32 v122, 0x3e9e377a, v143
	v_fmac_f32_e32 v117, 0xbf737871, v37
	v_fmac_f32_e32 v108, 0x3f737871, v99
	v_dual_add_f32 v14, v20, v4 :: v_dual_add_f32 v15, v21, v17
	v_dual_fmac_f32 v26, 0x3e9e377a, v140 :: v_dual_fmac_f32 v111, 0x3e9e377a, v141
	v_fmac_f32_e32 v22, 0x3e9e377a, v146
	v_mul_f32_e32 v4, 0xbf167918, v121
	v_mul_f32_e32 v39, 0xbf737871, v27
	v_mul_u32_u24_e32 v164, 5, v90
	v_fmac_f32_e32 v108, 0x3f167918, v37
	v_fmac_f32_e32 v127, 0xbf167918, v41
	v_dual_sub_f32 v17, v21, v17 :: v_dual_fmac_f32 v114, 0x3e9e377a, v112
	v_dual_fmac_f32 v25, 0x3e9e377a, v138 :: v_dual_fmac_f32 v102, 0x3e9e377a, v112
	v_fmamk_f32 v131, v56, 0xbf737871, v5
	v_fmac_f32_e32 v110, 0x3f167918, v54
	v_mul_f32_e32 v54, 0xbf167918, v22
	v_fmac_f32_e32 v4, 0x3f4f1bbd, v120
	v_fmamk_f32 v97, v43, 0x3f737871, v152
	v_fmac_f32_e32 v152, 0xbf737871, v43
	v_fmac_f32_e32 v117, 0x3f167918, v99
	;; [unrolled: 1-line block ×3, first 2 shown]
	s_delay_alu instid0(VALU_DEP_4)
	v_dual_fmac_f32 v42, 0x3f167918, v103 :: v_dual_fmac_f32 v97, 0x3f167918, v56
	v_fmac_f32_e32 v39, 0x3e9e377a, v26
	v_fmamk_f32 v19, v58, 0x3f737871, v165
	v_dual_add_f32 v158, v178, v158 :: v_dual_add_nc_u32 v33, 0x1e40, v28
	v_fmac_f32_e32 v11, 0x3f737871, v95
	v_fmac_f32_e32 v5, 0x3f737871, v56
	;; [unrolled: 1-line block ×4, first 2 shown]
	v_dual_fmac_f32 v117, 0x3e9e377a, v140 :: v_dual_fmac_f32 v108, 0x3e9e377a, v139
	v_dual_fmac_f32 v123, 0x3e9e377a, v153 :: v_dual_fmac_f32 v42, 0x3e9e377a, v151
	v_mul_f32_e32 v52, 0xbf4f1bbd, v111
	v_mul_f32_e32 v56, 0x3f167918, v18
	v_fmac_f32_e32 v54, 0x3f4f1bbd, v18
	v_dual_add_f32 v18, v24, v39 :: v_dual_fmac_f32 v19, 0xbf167918, v104
	v_fmac_f32_e32 v11, 0xbf167918, v100
	v_fmac_f32_e32 v105, 0x3e9e377a, v137
	v_dual_fmac_f32 v3, 0x3e9e377a, v149 :: v_dual_fmac_f32 v128, 0x3e9e377a, v159
	s_delay_alu instid0(VALU_DEP_4)
	v_dual_fmac_f32 v19, 0x3e9e377a, v150 :: v_dual_fmac_f32 v36, 0x3e9e377a, v156
	v_dual_fmac_f32 v127, 0x3e9e377a, v157 :: v_dual_fmac_f32 v130, 0x3e9e377a, v158
	v_fmac_f32_e32 v97, 0x3e9e377a, v161
	v_fmac_f32_e32 v52, 0x3f167918, v108
	v_fmamk_f32 v37, v100, 0x3f737871, v147
	v_fmac_f32_e32 v147, 0xbf737871, v100
	v_mul_f32_e32 v100, 0x3e9e377a, v42
	v_fmac_f32_e32 v135, 0x3f737871, v94
	v_dual_fmac_f32 v125, 0x3e9e377a, v144 :: v_dual_fmac_f32 v126, 0x3e9e377a, v149
	v_fmac_f32_e32 v56, 0x3f4f1bbd, v22
	s_delay_alu instid0(VALU_DEP_4) | instskip(NEXT) | instid1(VALU_DEP_4)
	v_fmac_f32_e32 v100, 0x3f737871, v19
	v_fmac_f32_e32 v135, 0xbf167918, v103
	;; [unrolled: 1-line block ×3, first 2 shown]
	v_dual_mul_f32 v41, 0xbe9e377a, v118 :: v_dual_fmac_f32 v40, 0xbe9e377a, v117
	v_fmac_f32_e32 v129, 0xbf737871, v103
	s_delay_alu instid0(VALU_DEP_3) | instskip(NEXT) | instid1(VALU_DEP_3)
	v_dual_fmac_f32 v135, 0x3e9e377a, v151 :: v_dual_fmac_f32 v136, 0x3e9e377a, v157
	v_dual_fmac_f32 v165, 0xbf737871, v58 :: v_dual_add_f32 v20, v106, v40
	s_delay_alu instid0(VALU_DEP_3) | instskip(NEXT) | instid1(VALU_DEP_3)
	v_fmac_f32_e32 v129, 0xbf167918, v94
	v_mul_f32_e32 v58, 0xbf737871, v135
	v_mul_f32_e32 v118, 0xbf737871, v23
	s_delay_alu instid0(VALU_DEP_4)
	v_fmac_f32_e32 v165, 0x3f167918, v104
	v_mul_u32_u24_e32 v162, 5, v91
	v_fmac_f32_e32 v129, 0x3e9e377a, v146
	v_fmac_f32_e32 v131, 0x3f167918, v43
	;; [unrolled: 1-line block ×3, first 2 shown]
	v_dual_fmac_f32 v11, 0x3e9e377a, v148 :: v_dual_fmac_f32 v124, 0x3e9e377a, v145
	s_delay_alu instid0(VALU_DEP_4)
	v_mul_f32_e32 v103, 0xbf167918, v129
	v_mul_f32_e32 v104, 0xbf4f1bbd, v129
	;; [unrolled: 1-line block ×4, first 2 shown]
	v_fmac_f32_e32 v10, 0xbf737871, v59
	v_dual_fmac_f32 v165, 0x3e9e377a, v150 :: v_dual_fmac_f32 v110, 0x3e9e377a, v159
	v_fmac_f32_e32 v104, 0x3f167918, v124
	v_fmac_f32_e32 v131, 0x3e9e377a, v155
	;; [unrolled: 1-line block ×3, first 2 shown]
	v_mul_f32_e32 v27, 0x3e9e377a, v27
	v_mul_f32_e32 v53, 0xbe9e377a, v135
	v_dual_mul_f32 v99, 0xbf737871, v42 :: v_dual_lshlrev_b32 v88, 3, v88
	v_dual_mul_f32 v55, 0xbe9e377a, v11 :: v_dual_fmac_f32 v58, 0xbe9e377a, v165
	s_delay_alu instid0(VALU_DEP_4)
	v_fmac_f32_e32 v27, 0x3f737871, v26
	v_fmac_f32_e32 v38, 0x3f4f1bbd, v121
	;; [unrolled: 1-line block ×4, first 2 shown]
	v_sub_f32_e32 v24, v24, v39
	v_fmac_f32_e32 v5, 0xbf167918, v43
	s_delay_alu instid0(VALU_DEP_4)
	v_dual_mul_f32 v43, 0xbf167918, v111 :: v_dual_sub_f32 v42, v3, v53
	v_mul_f32_e32 v111, 0xbf737871, v11
	v_add_f32_e32 v19, v25, v27
	v_add_f32_e32 v11, v116, v38
	v_dual_sub_f32 v23, v116, v38 :: v_dual_sub_f32 v38, v105, v52
	v_dual_fmac_f32 v10, 0x3f167918, v101 :: v_dual_fmac_f32 v37, 0x3f167918, v95
	v_dual_fmac_f32 v41, 0x3f737871, v117 :: v_dual_sub_f32 v22, v114, v4
	v_dual_fmac_f32 v109, 0x3e9e377a, v143 :: v_dual_fmac_f32 v2, 0x3e9e377a, v153
	s_delay_alu instid0(VALU_DEP_2) | instskip(SKIP_2) | instid1(VALU_DEP_3)
	v_dual_fmac_f32 v10, 0x3e9e377a, v156 :: v_dual_add_f32 v21, v107, v41
	v_dual_sub_f32 v36, v107, v41 :: v_dual_fmac_f32 v35, 0xbf167918, v59
	v_add_f32_e32 v39, v122, v54
	v_fmac_f32_e32 v55, 0x3f737871, v10
	v_dual_fmac_f32 v111, 0xbe9e377a, v10 :: v_dual_add_f32 v10, v114, v4
	v_dual_add_f32 v4, v3, v53 :: v_dual_fmac_f32 v147, 0xbf167918, v95
	v_add_f32_e32 v95, v126, v100
	v_sub_f32_e32 v100, v126, v100
	v_fmac_f32_e32 v37, 0x3e9e377a, v160
	v_add_f32_e32 v3, v2, v58
	v_fmac_f32_e32 v147, 0x3e9e377a, v160
	v_sub_f32_e32 v41, v2, v58
	v_sub_f32_e32 v58, v122, v54
	v_dual_fmac_f32 v35, 0x3e9e377a, v158 :: v_dual_add_f32 v94, v123, v99
	v_sub_f32_e32 v54, v110, v111
	v_mul_f32_e32 v132, 0xbf167918, v147
	v_mul_f32_e32 v133, 0xbf4f1bbd, v147
	v_mul_u32_u24_e32 v154, 5, v87
	v_mul_f32_e32 v115, 0x3f167918, v35
	v_sub_f32_e32 v25, v25, v27
	v_fmac_f32_e32 v43, 0xbf4f1bbd, v108
	v_fmac_f32_e32 v133, 0x3f167918, v130
	v_dual_fmac_f32 v132, 0xbf4f1bbd, v130 :: v_dual_add_f32 v27, v105, v52
	v_add_f32_e32 v52, v110, v111
	v_mul_f32_e32 v112, 0xbf167918, v37
	v_dual_fmac_f32 v5, 0x3e9e377a, v155 :: v_dual_lshlrev_b32 v154, 3, v154
	v_fmac_f32_e32 v152, 0x3e9e377a, v161
	s_delay_alu instid0(VALU_DEP_3)
	v_dual_fmac_f32 v115, 0x3f4f1bbd, v37 :: v_dual_fmac_f32 v112, 0x3f4f1bbd, v35
	v_sub_f32_e32 v35, v106, v40
	v_sub_f32_e32 v116, v136, v132
	v_dual_fmac_f32 v103, 0xbf4f1bbd, v124 :: v_dual_add_f32 v26, v102, v43
	v_mul_u32_u24_e32 v163, 5, v89
	v_dual_sub_f32 v37, v102, v43 :: v_dual_add_f32 v40, v125, v56
	global_wb scope:SCOPE_SE
	s_barrier_signal -1
	s_barrier_wait -1
	global_inv scope:SCOPE_SE
	v_add_f32_e32 v53, v5, v55
	v_sub_f32_e32 v55, v5, v55
	v_sub_f32_e32 v59, v125, v56
	;; [unrolled: 1-line block ×3, first 2 shown]
	v_dual_add_f32 v101, v109, v103 :: v_dual_add_f32 v102, v119, v104
	v_dual_sub_f32 v103, v109, v103 :: v_dual_sub_f32 v104, v119, v104
	v_dual_add_f32 v105, v127, v112 :: v_dual_add_f32 v106, v97, v115
	v_dual_sub_f32 v107, v127, v112 :: v_dual_sub_f32 v108, v97, v115
	;; [unrolled: 2-line block ×3, first 2 shown]
	v_add_f32_e32 v114, v136, v132
	v_add_f32_e32 v115, v152, v133
	v_sub_f32_e32 v117, v152, v133
	ds_store_2addr_b64 v28, v[0:1], v[10:11] offset1:1
	ds_store_2addr_b64 v28, v[18:19], v[20:21] offset0:2 offset1:3
	ds_store_2addr_b64 v28, v[26:27], v[6:7] offset0:4 offset1:5
	;; [unrolled: 1-line block ×4, first 2 shown]
	ds_store_2addr_b64 v29, v[8:9], v[39:40] offset1:1
	ds_store_2addr_b64 v30, v[94:95], v[3:4] offset1:1
	;; [unrolled: 1-line block ×10, first 2 shown]
	global_wb scope:SCOPE_SE
	s_wait_dscnt 0x0
	s_barrier_signal -1
	s_barrier_wait -1
	global_inv scope:SCOPE_SE
	s_clause 0x1
	global_load_b64 v[40:41], v113, s[4:5] offset:32
	global_load_b128 v[12:15], v154, s[4:5] offset:16
	v_lshlrev_b32_e32 v16, 3, v162
	v_lshlrev_b32_e32 v17, 3, v163
	;; [unrolled: 1-line block ×3, first 2 shown]
	s_clause 0xc
	global_load_b64 v[56:57], v16, s[4:5] offset:32
	global_load_b128 v[8:11], v17, s[4:5] offset:16
	global_load_b64 v[54:55], v18, s[4:5] offset:32
	global_load_b128 v[4:7], v18, s[4:5] offset:16
	global_load_b64 v[52:53], v17, s[4:5] offset:32
	global_load_b64 v[42:43], v154, s[4:5] offset:32
	global_load_b128 v[0:3], v16, s[4:5] offset:16
	global_load_b128 v[36:39], v113, s[4:5] offset:16
	global_load_b128 v[32:35], v154, s[4:5]
	global_load_b128 v[28:31], v17, s[4:5]
	;; [unrolled: 1-line block ×5, first 2 shown]
	v_mul_u32_u24_e32 v85, 0x8889, v85
	v_mul_lo_u16 v92, 0x89, v92
	v_and_b32_e32 v95, 0xffff, v80
	v_mul_u32_u24_e32 v94, 0x8889, v86
	v_and_b32_e32 v81, 0xffff, v81
	v_lshrrev_b32_e32 v85, 21, v85
	v_lshrrev_b16 v86, 13, v92
	v_mul_u32_u24_e32 v92, 0x1e0, v95
	v_mul_u32_u24_e32 v95, 0x1e0, v83
	v_mul_u32_u24_e32 v82, 0x1e0, v82
	v_mul_lo_u16 v83, v85, 60
	v_mul_u32_u24_e32 v84, 0x1e0, v84
	v_mul_u32_u24_e32 v81, 0x1e0, v81
	v_add3_u32 v146, 0, v92, v88
	v_lshlrev_b32_e32 v88, 3, v90
	v_sub_nc_u16 v61, v61, v83
	v_lshlrev_b32_e32 v83, 3, v91
	v_lshlrev_b32_e32 v89, 3, v89
	v_lshrrev_b32_e32 v80, 21, v94
	v_add3_u32 v149, 0, v82, v88
	v_mul_lo_u16 v94, v86, 60
	v_add3_u32 v148, 0, v81, v83
	v_add3_u32 v150, 0, v84, v89
	ds_load_2addr_b64 v[81:84], v66 offset1:96
	v_lshlrev_b32_e32 v87, 3, v87
	v_sub_nc_u16 v78, v78, v94
	v_mul_u32_u24_e32 v79, 0x8889, v79
	v_subrev_nc_u32_e32 v58, 60, v44
	s_delay_alu instid0(VALU_DEP_4)
	v_add3_u32 v151, 0, v95, v87
	ds_load_2addr_b64 v[87:90], v69 offset0:64 offset1:160
	ds_load_2addr_b64 v[94:97], v71 offset0:64 offset1:160
	;; [unrolled: 1-line block ×3, first 2 shown]
	ds_load_2addr_b64 v[102:105], v74 offset1:96
	ds_load_2addr_b64 v[106:109], v70 offset0:128 offset1:224
	ds_load_2addr_b64 v[110:113], v76 offset0:128 offset1:224
	;; [unrolled: 1-line block ×3, first 2 shown]
	ds_load_2addr_b64 v[118:121], v68 offset1:96
	ds_load_2addr_b64 v[122:125], v64 offset0:128 offset1:224
	ds_load_2addr_b64 v[126:129], v63 offset0:64 offset1:160
	;; [unrolled: 1-line block ×4, first 2 shown]
	ds_load_2addr_b64 v[138:141], v62 offset1:96
	ds_load_2addr_b64 v[142:145], v65 offset0:64 offset1:160
	v_and_b32_e32 v78, 0xff, v78
	v_lshrrev_b32_e32 v79, 21, v79
	global_wb scope:SCOPE_SE
	s_wait_loadcnt_dscnt 0x0
	s_barrier_signal -1
	s_barrier_wait -1
	v_mul_u32_u24_e32 v147, 5, v78
	global_inv scope:SCOPE_SE
	s_wait_alu 0xf1ff
	v_cndmask_b32_e64 v93, v58, v44, s0
	v_lshlrev_b32_e32 v78, 3, v78
	s_delay_alu instid0(VALU_DEP_2) | instskip(SKIP_4) | instid1(VALU_DEP_4)
	v_mul_i32_i24_e32 v58, 5, v93
	v_dual_mul_f32 v154, v88, v9 :: v_dual_mul_f32 v155, v97, v55
	v_mul_f32_e32 v156, v101, v11
	v_mul_f32_e32 v92, v82, v15
	v_dual_mul_f32 v15, v81, v15 :: v_dual_mul_f32 v152, v90, v13
	v_fmac_f32_e32 v155, v96, v54
	v_mul_f32_e32 v13, v89, v13
	s_delay_alu instid0(VALU_DEP_4) | instskip(NEXT) | instid1(VALU_DEP_4)
	v_fmac_f32_e32 v92, v81, v14
	v_fma_f32 v14, v82, v14, -v15
	v_mul_f32_e32 v82, v129, v25
	v_dual_fmac_f32 v152, v89, v12 :: v_dual_mul_f32 v153, v95, v57
	v_mul_f32_e32 v81, v119, v29
	s_delay_alu instid0(VALU_DEP_3) | instskip(SKIP_1) | instid1(VALU_DEP_4)
	v_dual_mul_f32 v15, v118, v29 :: v_dual_fmac_f32 v82, v128, v24
	v_mul_f32_e32 v55, v96, v55
	v_fmac_f32_e32 v153, v94, v56
	v_fma_f32 v12, v90, v12, -v13
	v_mul_f32_e32 v13, v123, v27
	v_fmac_f32_e32 v81, v118, v28
	v_fma_f32 v54, v97, v54, -v55
	v_mul_f32_e32 v97, v115, v35
	v_mul_f32_e32 v55, v113, v43
	;; [unrolled: 1-line block ×3, first 2 shown]
	v_fma_f32 v28, v119, v28, -v15
	v_fmac_f32_e32 v13, v122, v26
	v_fmac_f32_e32 v97, v114, v34
	;; [unrolled: 1-line block ×3, first 2 shown]
	v_mul_f32_e32 v57, v94, v57
	v_mul_f32_e32 v94, v105, v5
	;; [unrolled: 1-line block ×3, first 2 shown]
	v_fma_f32 v42, v113, v42, -v43
	v_sub_f32_e32 v113, v97, v92
	s_delay_alu instid0(VALU_DEP_4) | instskip(NEXT) | instid1(VALU_DEP_4)
	v_dual_mul_f32 v27, v122, v27 :: v_dual_fmac_f32 v94, v104, v4
	v_fma_f32 v4, v105, v4, -v5
	v_dual_mul_f32 v157, v99, v7 :: v_dual_mul_f32 v96, v117, v37
	s_delay_alu instid0(VALU_DEP_3) | instskip(NEXT) | instid1(VALU_DEP_3)
	v_fma_f32 v15, v123, v26, -v27
	v_dual_mul_f32 v7, v98, v7 :: v_dual_sub_f32 v122, v4, v54
	s_delay_alu instid0(VALU_DEP_3) | instskip(SKIP_2) | instid1(VALU_DEP_4)
	v_fmac_f32_e32 v157, v98, v6
	v_mul_f32_e32 v29, v125, v31
	v_mul_f32_e32 v31, v124, v31
	v_fma_f32 v6, v99, v6, -v7
	v_mul_f32_e32 v91, v84, v41
	v_dual_mul_f32 v41, v83, v41 :: v_dual_fmac_f32 v96, v116, v36
	v_fmac_f32_e32 v29, v124, v30
	s_delay_alu instid0(VALU_DEP_4) | instskip(NEXT) | instid1(VALU_DEP_4)
	v_add_f32_e32 v104, v15, v6
	v_fmac_f32_e32 v91, v83, v40
	s_delay_alu instid0(VALU_DEP_4)
	v_fma_f32 v40, v84, v40, -v41
	v_mul_f32_e32 v41, v121, v33
	v_mul_f32_e32 v33, v120, v33
	v_mul_f32_e32 v84, v17, v137
	v_mov_b32_e32 v59, v45
	v_fma_f32 v7, v125, v30, -v31
	v_add_f32_e32 v30, v96, v91
	v_fmac_f32_e32 v41, v120, v32
	v_fma_f32 v32, v121, v32, -v33
	v_dual_fmac_f32 v84, v16, v136 :: v_dual_mul_f32 v9, v87, v9
	v_dual_fmac_f32 v154, v87, v8 :: v_dual_add_f32 v105, v142, v13
	s_delay_alu instid0(VALU_DEP_3) | instskip(NEXT) | instid1(VALU_DEP_3)
	v_dual_add_f32 v112, v32, v12 :: v_dual_mul_f32 v43, v107, v39
	v_dual_add_f32 v27, v84, v96 :: v_dual_fmac_f32 v84, -0.5, v30
	v_mul_f32_e32 v35, v114, v35
	v_sub_f32_e32 v114, v152, v55
	v_fma_f32 v56, v95, v56, -v57
	v_mul_f32_e32 v57, v111, v53
	v_fmac_f32_e32 v43, v106, v38
	v_mul_f32_e32 v53, v110, v53
	v_fma_f32 v5, v115, v34, -v35
	s_delay_alu instid0(VALU_DEP_4) | instskip(SKIP_1) | instid1(VALU_DEP_4)
	v_dual_fmac_f32 v156, v100, v10 :: v_dual_fmac_f32 v57, v110, v52
	v_sub_f32_e32 v121, v13, v157
	v_fma_f32 v52, v111, v52, -v53
	v_add_f32_e32 v111, v12, v42
	v_sub_f32_e32 v12, v12, v42
	v_fma_f32 v8, v88, v8, -v9
	v_mul_f32_e32 v53, v109, v3
	v_sub_f32_e32 v124, v5, v14
	v_dual_fmac_f32 v32, -0.5, v111 :: v_dual_mul_f32 v9, v126, v21
	s_delay_alu instid0(VALU_DEP_4) | instskip(SKIP_2) | instid1(VALU_DEP_3)
	v_dual_add_f32 v98, v8, v52 :: v_dual_mul_f32 v95, v103, v1
	v_add_f32_e32 v99, v28, v8
	v_mul_f32_e32 v1, v102, v1
	v_dual_mul_f32 v3, v108, v3 :: v_dual_fmac_f32 v28, -0.5, v98
	s_delay_alu instid0(VALU_DEP_4) | instskip(NEXT) | instid1(VALU_DEP_3)
	v_dual_fmac_f32 v95, v102, v0 :: v_dual_add_f32 v102, v144, v29
	v_fma_f32 v0, v103, v0, -v1
	s_delay_alu instid0(VALU_DEP_3) | instskip(SKIP_1) | instid1(VALU_DEP_4)
	v_fma_f32 v1, v109, v2, -v3
	v_add_f32_e32 v119, v4, v54
	v_sub_f32_e32 v87, v95, v153
	v_mul_f32_e32 v83, v127, v21
	v_mul_f32_e32 v21, v133, v23
	;; [unrolled: 1-line block ×3, first 2 shown]
	v_dual_sub_f32 v88, v0, v56 :: v_dual_add_f32 v103, v13, v157
	s_delay_alu instid0(VALU_DEP_4) | instskip(SKIP_1) | instid1(VALU_DEP_4)
	v_fmac_f32_e32 v83, v126, v20
	v_fma_f32 v20, v127, v20, -v9
	v_fma_f32 v9, v133, v22, -v23
	v_mul_f32_e32 v11, v100, v11
	v_fmac_f32_e32 v21, v132, v22
	v_sub_f32_e32 v120, v15, v6
	v_add_f32_e32 v90, v145, v7
	v_sub_f32_e32 v118, v9, v1
	v_fma_f32 v10, v101, v10, -v11
	v_mul_f32_e32 v11, v131, v19
	v_mul_f32_e32 v19, v130, v19
	v_dual_fmac_f32 v53, v108, v2 :: v_dual_add_f32 v108, v135, v5
	v_mul_f32_e32 v39, v106, v39
	s_delay_alu instid0(VALU_DEP_4) | instskip(NEXT) | instid1(VALU_DEP_4)
	v_fmac_f32_e32 v11, v130, v18
	v_fma_f32 v18, v131, v18, -v19
	v_dual_sub_f32 v123, v7, v10 :: v_dual_add_f32 v34, v141, v9
	s_delay_alu instid0(VALU_DEP_4) | instskip(SKIP_1) | instid1(VALU_DEP_4)
	v_fma_f32 v2, v107, v38, -v39
	v_add_f32_e32 v107, v5, v14
	v_dual_add_f32 v19, v139, v18 :: v_dual_add_f32 v38, v20, v0
	s_delay_alu instid0(VALU_DEP_3) | instskip(SKIP_1) | instid1(VALU_DEP_3)
	v_dual_add_f32 v106, v143, v15 :: v_dual_sub_f32 v23, v18, v2
	v_add_f32_e32 v18, v18, v2
	v_add_f32_e32 v5, v19, v2
	v_dual_add_f32 v2, v27, v91 :: v_dual_add_f32 v27, v102, v156
	v_mul_f32_e32 v17, v17, v136
	s_delay_alu instid0(VALU_DEP_4)
	v_fma_f32 v30, -0.5, v18, v139
	v_add_f32_e32 v19, v106, v6
	v_sub_f32_e32 v39, v21, v53
	v_add_f32_e32 v89, v7, v10
	v_fma_f32 v22, v16, v137, -v17
	v_add_f32_e32 v16, v138, v11
	v_add_f32_e32 v17, v11, v43
	v_sub_f32_e32 v11, v11, v43
	v_mul_f32_e32 v25, v128, v25
	v_sub_f32_e32 v8, v8, v52
	v_sub_f32_e32 v100, v29, v156
	v_lshlrev_b64_e32 v[58:59], 3, v[58:59]
	s_delay_alu instid0(VALU_DEP_4) | instskip(SKIP_1) | instid1(VALU_DEP_3)
	v_fma_f32 v24, v129, v24, -v25
	v_dual_mul_f32 v37, v116, v37 :: v_dual_add_f32 v116, v82, v94
	v_add_co_u32 v58, s0, s4, v58
	s_delay_alu instid0(VALU_DEP_2)
	v_fma_f32 v3, v117, v36, -v37
	v_add_f32_e32 v37, v0, v56
	v_add_f32_e32 v117, v24, v4
	;; [unrolled: 1-line block ×4, first 2 shown]
	v_dual_add_f32 v25, v3, v40 :: v_dual_add_f32 v26, v22, v3
	v_dual_sub_f32 v33, v3, v40 :: v_dual_fmamk_f32 v56, v114, 0x3f5db3d7, v32
	v_dual_fmac_f32 v32, 0xbf5db3d7, v114 :: v_dual_add_f32 v3, v9, v1
	s_delay_alu instid0(VALU_DEP_3) | instskip(SKIP_3) | instid1(VALU_DEP_4)
	v_dual_fmac_f32 v22, -0.5, v25 :: v_dual_add_f32 v9, v94, v155
	v_add_f32_e32 v25, v117, v54
	v_add_f32_e32 v0, v21, v53
	v_dual_add_f32 v21, v140, v21 :: v_dual_fmamk_f32 v54, v11, 0x3f5db3d7, v30
	v_fmac_f32_e32 v82, -0.5, v9
	s_delay_alu instid0(VALU_DEP_4) | instskip(SKIP_1) | instid1(VALU_DEP_4)
	v_dual_fmac_f32 v30, 0xbf5db3d7, v11 :: v_dual_add_f32 v9, v19, v25
	v_sub_f32_e32 v11, v19, v25
	v_add_f32_e32 v13, v21, v53
	s_delay_alu instid0(VALU_DEP_4)
	v_fmamk_f32 v25, v122, 0xbf5db3d7, v82
	v_fmac_f32_e32 v82, 0x3f5db3d7, v122
	v_dual_add_f32 v36, v83, v95 :: v_dual_add_f32 v7, v26, v40
	v_fma_f32 v40, -0.5, v0, v140
	v_add_f32_e32 v0, v4, v2
	v_sub_f32_e32 v2, v4, v2
	s_delay_alu instid0(VALU_DEP_4) | instskip(SKIP_3) | instid1(VALU_DEP_4)
	v_add_f32_e32 v15, v36, v153
	v_dual_sub_f32 v31, v96, v91 :: v_dual_add_f32 v96, v81, v154
	v_sub_f32_e32 v94, v94, v155
	v_fma_f32 v91, -0.5, v104, v143
	v_add_f32_e32 v4, v13, v15
	v_add_f32_e32 v18, v105, v157
	v_dual_sub_f32 v6, v13, v15 :: v_dual_add_f32 v35, v95, v153
	v_add_f32_e32 v95, v154, v57
	v_add_f32_e32 v21, v116, v155
	v_fmac_f32_e32 v24, -0.5, v119
	s_delay_alu instid0(VALU_DEP_4) | instskip(NEXT) | instid1(VALU_DEP_4)
	v_dual_add_f32 v38, v112, v42 :: v_dual_fmac_f32 v83, -0.5, v35
	v_fmac_f32_e32 v81, -0.5, v95
	v_add_f32_e32 v35, v90, v10
	v_sub_f32_e32 v10, v18, v21
	v_fmamk_f32 v90, v121, 0x3f5db3d7, v91
	v_fma_f32 v26, -0.5, v17, v138
	v_dual_add_f32 v17, v34, v1 :: v_dual_add_f32 v34, v99, v52
	v_fmamk_f32 v52, v33, 0xbf5db3d7, v84
	v_fmac_f32_e32 v84, 0x3f5db3d7, v33
	v_fmamk_f32 v33, v8, 0xbf5db3d7, v81
	v_dual_fmac_f32 v81, 0x3f5db3d7, v8 :: v_dual_add_f32 v8, v18, v21
	v_fmamk_f32 v21, v94, 0x3f5db3d7, v24
	v_add_f32_e32 v13, v35, v34
	v_dual_sub_f32 v15, v35, v34 :: v_dual_fmamk_f32 v34, v118, 0xbf5db3d7, v40
	v_add_f32_e32 v115, v97, v92
	v_dual_add_f32 v97, v134, v97 :: v_dual_fmac_f32 v40, 0x3f5db3d7, v118
	v_add_f32_e32 v110, v41, v152
	v_fmac_f32_e32 v24, 0xbf5db3d7, v94
	v_mul_f32_e32 v102, 0.5, v21
	s_delay_alu instid0(VALU_DEP_4) | instskip(SKIP_1) | instid1(VALU_DEP_4)
	v_add_f32_e32 v36, v97, v92
	v_dual_add_f32 v42, v108, v14 :: v_dual_add_f32 v1, v5, v7
	v_dual_mul_f32 v104, -0.5, v24 :: v_dual_fmamk_f32 v43, v31, 0x3f5db3d7, v22
	v_fmac_f32_e32 v22, 0xbf5db3d7, v31
	v_fmac_f32_e32 v102, 0x3f5db3d7, v25
	v_dual_fmac_f32 v20, -0.5, v37 :: v_dual_add_f32 v37, v110, v55
	v_mul_f32_e32 v110, 0.5, v56
	v_add_f32_e32 v29, v29, v156
	v_dual_sub_f32 v19, v42, v38 :: v_dual_mul_f32 v108, 0xbf5db3d7, v32
	v_fmac_f32_e32 v141, -0.5, v3
	v_sub_f32_e32 v3, v5, v7
	s_delay_alu instid0(VALU_DEP_4)
	v_fma_f32 v95, -0.5, v29, v144
	v_add_f32_e32 v5, v17, v16
	v_sub_f32_e32 v7, v17, v16
	v_add_f32_e32 v17, v42, v38
	v_mul_f32_e32 v38, 0xbf5db3d7, v22
	v_add_f32_e32 v16, v36, v37
	v_sub_f32_e32 v18, v36, v37
	v_fmamk_f32 v94, v123, 0xbf5db3d7, v95
	v_fmamk_f32 v53, v23, 0xbf5db3d7, v26
	v_fmac_f32_e32 v26, 0x3f5db3d7, v23
	v_mul_f32_e32 v36, 0xbf5db3d7, v43
	v_dual_fmac_f32 v38, -0.5, v84 :: v_dual_add_f32 v109, v152, v55
	v_add_f32_e32 v29, v96, v57
	v_fmamk_f32 v23, v87, 0x3f5db3d7, v20
	v_fmac_f32_e32 v20, 0xbf5db3d7, v87
	v_mul_f32_e32 v42, -0.5, v22
	v_dual_fmac_f32 v36, 0.5, v52 :: v_dual_sub_f32 v101, v154, v57
	v_add_f32_e32 v22, v26, v38
	v_dual_sub_f32 v38, v26, v38 :: v_dual_fmac_f32 v41, -0.5, v109
	v_fmamk_f32 v55, v39, 0x3f5db3d7, v141
	v_dual_fmac_f32 v141, 0xbf5db3d7, v39 :: v_dual_sub_f32 v14, v27, v29
	v_mul_f32_e32 v97, 0xbf5db3d7, v20
	s_delay_alu instid0(VALU_DEP_4)
	v_fmamk_f32 v57, v12, 0xbf5db3d7, v41
	v_dual_fmac_f32 v41, 0x3f5db3d7, v12 :: v_dual_add_f32 v12, v27, v29
	v_mul_f32_e32 v27, -0.5, v20
	v_add_f32_e32 v20, v53, v36
	v_fmamk_f32 v39, v101, 0x3f5db3d7, v28
	v_fmamk_f32 v31, v88, 0xbf5db3d7, v83
	v_fmac_f32_e32 v83, 0x3f5db3d7, v88
	v_mul_f32_e32 v99, 0xbf5db3d7, v23
	v_fmac_f32_e32 v110, 0x3f5db3d7, v57
	v_mul_f32_e32 v106, 0xbf5db3d7, v39
	s_delay_alu instid0(VALU_DEP_4) | instskip(SKIP_1) | instid1(VALU_DEP_3)
	v_dual_fmac_f32 v28, 0xbf5db3d7, v101 :: v_dual_fmac_f32 v97, -0.5, v83
	v_dual_mul_f32 v37, 0.5, v43 :: v_dual_fmac_f32 v42, 0x3f5db3d7, v84
	v_fmac_f32_e32 v106, 0.5, v33
	v_fmac_f32_e32 v145, -0.5, v89
	v_fma_f32 v89, -0.5, v103, v142
	v_mul_f32_e32 v103, 0xbf5db3d7, v24
	v_dual_fmac_f32 v99, 0.5, v31 :: v_dual_add_f32 v24, v40, v97
	v_fmac_f32_e32 v135, -0.5, v107
	v_dual_mul_f32 v107, 0.5, v39 :: v_dual_fmamk_f32 v88, v100, 0x3f5db3d7, v145
	v_dual_fmac_f32 v145, 0xbf5db3d7, v100 :: v_dual_mul_f32 v100, 0.5, v23
	v_mul_f32_e32 v35, -0.5, v28
	v_mul_f32_e32 v43, -0.5, v32
	v_mul_f32_e32 v101, 0xbf5db3d7, v21
	v_mul_f32_e32 v105, 0xbf5db3d7, v28
	;; [unrolled: 1-line block ×3, first 2 shown]
	v_fmac_f32_e32 v37, 0x3f5db3d7, v52
	v_fmac_f32_e32 v107, 0x3f5db3d7, v33
	v_add_f32_e32 v23, v30, v42
	v_sub_f32_e32 v39, v30, v42
	v_sub_f32_e32 v42, v34, v99
	v_fma_f32 v98, -0.5, v115, v134
	v_fmac_f32_e32 v100, 0x3f5db3d7, v31
	v_fmac_f32_e32 v27, 0x3f5db3d7, v83
	v_fmamk_f32 v87, v120, 0xbf5db3d7, v89
	v_fmac_f32_e32 v89, 0x3f5db3d7, v120
	v_fmamk_f32 v96, v124, 0xbf5db3d7, v98
	v_dual_fmac_f32 v98, 0x3f5db3d7, v124 :: v_dual_fmac_f32 v35, 0x3f5db3d7, v81
	v_fmac_f32_e32 v43, 0x3f5db3d7, v41
	v_fmac_f32_e32 v101, 0.5, v25
	v_fmac_f32_e32 v103, -0.5, v82
	v_dual_fmac_f32 v104, 0x3f5db3d7, v82 :: v_dual_fmac_f32 v105, -0.5, v81
	v_fmac_f32_e32 v108, -0.5, v41
	v_fmac_f32_e32 v109, 0.5, v57
	v_add_f32_e32 v21, v54, v37
	v_sub_f32_e32 v26, v40, v97
	v_fmamk_f32 v92, v113, 0x3f5db3d7, v135
	v_dual_fmac_f32 v135, 0xbf5db3d7, v113 :: v_dual_add_f32 v84, v88, v107
	v_dual_fmac_f32 v91, 0xbf5db3d7, v121 :: v_dual_sub_f32 v88, v88, v107
	v_dual_fmac_f32 v95, 0x3f5db3d7, v123 :: v_dual_sub_f32 v36, v53, v36
	v_sub_f32_e32 v37, v54, v37
	v_dual_add_f32 v40, v34, v99 :: v_dual_add_f32 v41, v55, v100
	v_add_f32_e32 v25, v141, v27
	v_sub_f32_e32 v27, v141, v27
	v_add_f32_e32 v29, v145, v35
	v_sub_f32_e32 v31, v145, v35
	;; [unrolled: 2-line block ×3, first 2 shown]
	v_sub_f32_e32 v43, v55, v100
	v_dual_add_f32 v52, v87, v101 :: v_dual_add_f32 v53, v90, v102
	v_dual_sub_f32 v54, v87, v101 :: v_dual_sub_f32 v55, v90, v102
	v_dual_add_f32 v56, v89, v103 :: v_dual_add_f32 v57, v91, v104
	v_dual_sub_f32 v81, v89, v103 :: v_dual_sub_f32 v82, v91, v104
	v_add_f32_e32 v28, v95, v105
	v_dual_sub_f32 v30, v95, v105 :: v_dual_add_f32 v83, v94, v106
	v_sub_f32_e32 v87, v94, v106
	v_dual_add_f32 v32, v98, v108 :: v_dual_add_f32 v89, v96, v109
	v_add_f32_e32 v90, v92, v110
	ds_store_2addr_b64 v146, v[0:1], v[20:21] offset1:10
	ds_store_2addr_b64 v146, v[22:23], v[2:3] offset0:20 offset1:30
	ds_store_2addr_b64 v146, v[36:37], v[38:39] offset0:40 offset1:50
	ds_store_2addr_b64 v148, v[4:5], v[40:41] offset1:10
	ds_store_2addr_b64 v148, v[24:25], v[6:7] offset0:20 offset1:30
	ds_store_2addr_b64 v148, v[42:43], v[26:27] offset0:40 offset1:50
	;; [unrolled: 3-line block ×4, first 2 shown]
	ds_store_2addr_b64 v151, v[16:17], v[89:90] offset1:10
	ds_store_2addr_b64 v151, v[32:33], v[18:19] offset0:20 offset1:30
	v_mul_lo_u16 v0, v80, 60
	v_mul_lo_u16 v1, v79, 60
	v_dual_sub_f32 v34, v98, v108 :: v_dual_and_b32 v83, 0xffff, v61
	v_sub_f32_e32 v91, v96, v109
	s_delay_alu instid0(VALU_DEP_4) | instskip(NEXT) | instid1(VALU_DEP_4)
	v_sub_nc_u16 v0, v77, v0
	v_sub_nc_u16 v1, v60, v1
	v_sub_f32_e32 v92, v92, v110
	v_lshlrev_b32_e32 v40, 3, v147
	s_wait_alu 0xf1ff
	v_add_co_ci_u32_e64 v59, s0, s5, v59, s0
	v_and_b32_e32 v82, 0xffff, v0
	v_mul_u32_u24_e32 v0, 5, v83
	v_and_b32_e32 v81, 0xffff, v1
	ds_store_2addr_b64 v151, v[91:92], v[34:35] offset0:40 offset1:50
	global_wb scope:SCOPE_SE
	s_wait_dscnt 0x0
	s_barrier_signal -1
	s_barrier_wait -1
	global_inv scope:SCOPE_SE
	v_mul_u32_u24_e32 v1, 5, v82
	global_load_b128 v[32:35], v40, s[4:5] offset:400
	v_lshlrev_b32_e32 v41, 3, v0
	v_mul_u32_u24_e32 v0, 5, v81
	global_load_b128 v[36:39], v[58:59], off offset:400
	v_lshlrev_b32_e32 v42, 3, v1
	v_cmp_lt_u32_e64 s0, 59, v44
	global_load_b128 v[28:31], v41, s[4:5] offset:400
	v_lshlrev_b32_e32 v43, 3, v0
	s_clause 0xb
	global_load_b128 v[24:27], v42, s[4:5] offset:400
	global_load_b128 v[20:23], v43, s[4:5] offset:400
	global_load_b128 v[16:19], v[58:59], off offset:416
	global_load_b128 v[12:15], v40, s[4:5] offset:416
	global_load_b128 v[8:11], v41, s[4:5] offset:416
	;; [unrolled: 1-line block ×4, first 2 shown]
	global_load_b64 v[52:53], v[58:59], off offset:432
	global_load_b64 v[56:57], v40, s[4:5] offset:432
	global_load_b64 v[54:55], v41, s[4:5] offset:432
	;; [unrolled: 1-line block ×4, first 2 shown]
	s_wait_alu 0xf1ff
	v_cndmask_b32_e64 v84, 0, 0xb40, s0
	v_lshlrev_b32_e32 v87, 3, v93
	ds_load_2addr_b64 v[40:43], v73 offset0:128 offset1:224
	v_cmp_gt_u32_e64 s0, 0x48, v44
	v_add3_u32 v84, 0, v84, v87
	ds_load_2addr_b64 v[87:90], v72 offset0:64 offset1:160
	ds_load_2addr_b64 v[91:94], v63 offset0:64 offset1:160
	;; [unrolled: 1-line block ×3, first 2 shown]
	ds_load_2addr_b64 v[99:102], v68 offset1:96
	ds_load_2addr_b64 v[103:106], v67 offset0:64 offset1:160
	ds_load_2addr_b64 v[107:110], v70 offset0:128 offset1:224
	ds_load_2addr_b64 v[111:114], v74 offset1:96
	ds_load_2addr_b64 v[115:118], v75 offset0:64 offset1:160
	ds_load_2addr_b64 v[119:122], v69 offset0:64 offset1:160
	;; [unrolled: 3-line block ×3, first 2 shown]
	ds_load_2addr_b64 v[135:138], v62 offset1:96
	ds_load_2addr_b64 v[139:142], v65 offset0:64 offset1:160
	global_wb scope:SCOPE_SE
	s_wait_loadcnt_dscnt 0x0
	s_barrier_signal -1
	s_barrier_wait -1
	global_inv scope:SCOPE_SE
	v_mul_f32_e32 v146, v92, v33
	v_mul_f32_e32 v33, v91, v33
	;; [unrolled: 1-line block ×4, first 2 shown]
	v_dual_mul_f32 v27, v97, v27 :: v_dual_mul_f32 v150, v100, v25
	v_mul_f32_e32 v25, v99, v25
	v_fmac_f32_e32 v146, v91, v32
	v_fma_f32 v32, v92, v32, -v33
	v_mul_f32_e32 v33, v118, v7
	v_mul_f32_e32 v7, v117, v7
	;; [unrolled: 1-line block ×7, first 2 shown]
	v_fmac_f32_e32 v145, v89, v34
	v_fmac_f32_e32 v149, v97, v26
	v_fma_f32 v26, v98, v26, -v27
	v_dual_mul_f32 v89, v132, v59 :: v_dual_fmac_f32 v150, v99, v24
	v_fma_f32 v24, v100, v24, -v25
	v_mul_f32_e32 v25, v131, v59
	v_mul_f32_e32 v59, v134, v61
	;; [unrolled: 1-line block ×3, first 2 shown]
	v_fmac_f32_e32 v33, v117, v6
	v_fma_f32 v6, v118, v6, -v7
	v_dual_mul_f32 v29, v93, v29 :: v_dual_mul_f32 v148, v96, v31
	v_fmac_f32_e32 v143, v36, v42
	v_fma_f32 v34, v90, v34, -v35
	v_fmac_f32_e32 v147, v93, v28
	v_fma_f32 v90, v102, v20, -v21
	v_fma_f32 v21, v132, v58, -v25
	;; [unrolled: 1-line block ×3, first 2 shown]
	v_add_f32_e32 v61, v26, v6
	v_add_f32_e32 v93, v142, v26
	v_sub_f32_e32 v26, v26, v6
	v_dual_mul_f32 v37, v37, v42 :: v_dual_mul_f32 v42, v116, v11
	v_mul_f32_e32 v152, v104, v23
	v_fmac_f32_e32 v148, v95, v30
	v_mul_f32_e32 v144, v39, v88
	s_delay_alu instid0(VALU_DEP_4)
	v_fma_f32 v36, v36, v43, -v37
	v_dual_mul_f32 v43, v120, v5 :: v_dual_fmac_f32 v42, v115, v10
	v_mul_f32_e32 v153, v17, v106
	v_dual_mul_f32 v17, v17, v105 :: v_dual_mul_f32 v154, v108, v19
	v_mul_f32_e32 v19, v107, v19
	v_mul_f32_e32 v35, v114, v9
	v_fma_f32 v28, v94, v28, -v29
	v_dual_mul_f32 v29, v122, v1 :: v_dual_fmac_f32 v152, v103, v22
	v_dual_fmac_f32 v43, v119, v4 :: v_dual_sub_f32 v118, v148, v42
	v_mul_f32_e32 v39, v39, v87
	v_mul_f32_e32 v31, v95, v31
	v_dual_fmac_f32 v144, v38, v87 :: v_dual_mul_f32 v9, v113, v9
	v_mul_f32_e32 v1, v121, v1
	s_delay_alu instid0(VALU_DEP_4)
	v_fma_f32 v37, v38, v88, -v39
	v_mul_f32_e32 v38, v110, v15
	v_mul_f32_e32 v15, v109, v15
	;; [unrolled: 1-line block ×5, first 2 shown]
	v_fmac_f32_e32 v151, v101, v20
	v_fmac_f32_e32 v35, v113, v8
	;; [unrolled: 1-line block ×4, first 2 shown]
	v_add_f32_e32 v95, v150, v43
	v_mul_f32_e32 v57, v130, v55
	v_add_f32_e32 v113, v40, v152
	v_fmac_f32_e32 v153, v16, v105
	v_fma_f32 v16, v16, v106, -v17
	v_fma_f32 v17, v108, v18, -v19
	v_mul_f32_e32 v11, v115, v11
	v_fma_f32 v30, v96, v30, -v31
	v_mul_f32_e32 v31, v126, v53
	v_dual_mul_f32 v53, v125, v53 :: v_dual_fmac_f32 v154, v107, v18
	v_fmac_f32_e32 v38, v109, v14
	v_fma_f32 v14, v110, v14, -v15
	v_fma_f32 v0, v122, v0, -v1
	v_fmac_f32_e32 v57, v129, v54
	v_fmac_f32_e32 v59, v133, v60
	v_add_f32_e32 v15, v37, v17
	v_add_f32_e32 v108, v151, v29
	v_fmac_f32_e32 v39, v111, v12
	v_mul_f32_e32 v5, v119, v5
	v_fma_f32 v8, v114, v8, -v9
	v_fma_f32 v9, v116, v10, -v11
	;; [unrolled: 1-line block ×3, first 2 shown]
	v_dual_fmac_f32 v88, v127, v56 :: v_dual_sub_f32 v11, v144, v154
	v_add_f32_e32 v53, v146, v39
	v_add_f32_e32 v109, v0, v25
	;; [unrolled: 1-line block ×3, first 2 shown]
	v_fma_f32 v119, -0.5, v15, v136
	v_dual_add_f32 v107, v29, v59 :: v_dual_add_f32 v110, v90, v0
	v_sub_f32_e32 v29, v29, v59
	v_dual_add_f32 v114, v147, v35 :: v_dual_add_f32 v15, v53, v88
	v_fmac_f32_e32 v147, -0.5, v116
	v_fmamk_f32 v53, v11, 0x3f5db3d7, v119
	v_fmac_f32_e32 v119, 0xbf5db3d7, v11
	v_dual_mul_f32 v87, v124, v3 :: v_dual_add_nc_u32 v116, 0xc00, v62
	v_fmac_f32_e32 v90, -0.5, v109
	v_mul_f32_e32 v13, v111, v13
	v_fmac_f32_e32 v31, v125, v52
	v_add_f32_e32 v52, v39, v88
	s_delay_alu instid0(VALU_DEP_4)
	v_dual_sub_f32 v39, v39, v88 :: v_dual_fmamk_f32 v88, v29, 0x3f5db3d7, v90
	v_fmac_f32_e32 v87, v123, v2
	v_fma_f32 v12, v112, v12, -v13
	v_fma_f32 v4, v120, v4, -v5
	v_add_f32_e32 v94, v43, v89
	v_sub_f32_e32 v112, v0, v25
	v_add_f32_e32 v0, v152, v87
	v_add_f32_e32 v18, v16, v1
	v_dual_add_f32 v19, v36, v16 :: v_dual_add_f32 v60, v137, v145
	v_add_f32_e32 v96, v4, v21
	v_add_f32_e32 v97, v24, v4
	v_sub_f32_e32 v4, v4, v21
	v_fmac_f32_e32 v142, -0.5, v61
	v_fmac_f32_e32 v150, -0.5, v94
	v_fma_f32 v61, -0.5, v0, v40
	v_add_f32_e32 v7, v144, v154
	v_dual_mul_f32 v3, v123, v3 :: v_dual_fmac_f32 v36, -0.5, v18
	v_add_f32_e32 v18, v19, v1
	v_add_f32_e32 v5, v135, v144
	s_delay_alu instid0(VALU_DEP_4)
	v_fma_f32 v19, -0.5, v7, v135
	v_add_f32_e32 v7, v60, v38
	v_dual_fmamk_f32 v60, v4, 0xbf5db3d7, v150 :: v_dual_mul_f32 v55, v129, v55
	v_fma_f32 v92, v124, v2, -v3
	v_add_f32_e32 v10, v136, v37
	v_add_f32_e32 v20, v143, v153
	v_fma_f32 v2, v128, v56, -v27
	v_fma_f32 v3, v130, v54, -v55
	v_sub_f32_e32 v13, v37, v17
	v_add_f32_e32 v37, v138, v34
	v_add_f32_e32 v55, v32, v12
	v_sub_f32_e32 v43, v43, v89
	v_add_f32_e32 v117, v8, v3
	v_dual_add_f32 v5, v5, v154 :: v_dual_add_f32 v10, v10, v17
	v_dual_add_f32 v17, v20, v31 :: v_dual_fmac_f32 v24, -0.5, v96
	v_add_f32_e32 v27, v34, v14
	v_add_f32_e32 v54, v12, v2
	v_sub_f32_e32 v12, v12, v2
	v_dual_add_f32 v102, v30, v9 :: v_dual_add_f32 v115, v28, v8
	v_dual_sub_f32 v34, v34, v14 :: v_dual_sub_f32 v35, v35, v57
	v_add_f32_e32 v20, v55, v2
	v_add_f32_e32 v14, v37, v14
	v_fmac_f32_e32 v28, -0.5, v117
	v_add_f32_e32 v0, v5, v17
	v_dual_sub_f32 v2, v5, v17 :: v_dual_fmamk_f32 v17, v43, 0x3f5db3d7, v24
	v_dual_mul_f32 v23, v103, v23 :: v_dual_sub_f32 v56, v145, v38
	v_sub_f32_e32 v98, v149, v33
	v_dual_add_f32 v99, v141, v149 :: v_dual_sub_f32 v8, v8, v3
	v_fmac_f32_e32 v138, -0.5, v27
	v_fmac_f32_e32 v32, -0.5, v54
	v_fma_f32 v54, -0.5, v102, v140
	v_add_f32_e32 v37, v114, v57
	v_dual_add_f32 v57, v93, v6 :: v_dual_fmac_f32 v150, 0x3f5db3d7, v4
	v_dual_add_f32 v4, v7, v15 :: v_dual_add_f32 v5, v14, v20
	v_dual_sub_f32 v6, v7, v15 :: v_dual_sub_f32 v7, v14, v20
	v_fmamk_f32 v14, v35, 0x3f5db3d7, v28
	v_mul_f32_e32 v102, 0xbf5db3d7, v17
	v_fma_f32 v91, v104, v22, -v23
	v_sub_f32_e32 v23, v153, v31
	v_dual_add_f32 v22, v153, v31 :: v_dual_add_f32 v101, v148, v42
	v_add_f32_e32 v100, v149, v33
	v_dual_add_f32 v104, v140, v30 :: v_dual_add_f32 v55, v99, v33
	s_delay_alu instid0(VALU_DEP_4)
	v_fmamk_f32 v33, v23, 0x3f5db3d7, v36
	v_fmac_f32_e32 v36, 0xbf5db3d7, v23
	v_fmamk_f32 v23, v56, 0x3f5db3d7, v138
	v_fmac_f32_e32 v138, 0xbf5db3d7, v56
	v_fmamk_f32 v56, v98, 0x3f5db3d7, v142
	v_dual_fmac_f32 v142, 0xbf5db3d7, v98 :: v_dual_fmamk_f32 v15, v8, 0xbf5db3d7, v147
	v_mul_f32_e32 v98, 0.5, v14
	v_dual_sub_f32 v16, v16, v1 :: v_dual_add_f32 v103, v139, v148
	v_dual_sub_f32 v30, v30, v9 :: v_dual_fmac_f32 v143, -0.5, v22
	v_fmac_f32_e32 v146, -0.5, v52
	v_fma_f32 v52, -0.5, v101, v139
	v_dual_add_f32 v31, v104, v9 :: v_dual_fmac_f32 v98, 0x3f5db3d7, v15
	v_add_f32_e32 v58, v145, v38
	v_add_f32_e32 v38, v115, v3
	v_add_f32_e32 v22, v103, v42
	v_fmamk_f32 v40, v16, 0xbf5db3d7, v143
	v_fmamk_f32 v42, v13, 0xbf5db3d7, v19
	v_fmac_f32_e32 v19, 0x3f5db3d7, v13
	v_fmamk_f32 v13, v39, 0x3f5db3d7, v32
	v_fmac_f32_e32 v32, 0xbf5db3d7, v39
	v_fmac_f32_e32 v90, 0xbf5db3d7, v29
	v_fmamk_f32 v39, v30, 0xbf5db3d7, v52
	v_fmac_f32_e32 v52, 0x3f5db3d7, v30
	v_mul_f32_e32 v29, 0xbf5db3d7, v33
	v_dual_mul_f32 v30, 0.5, v33 :: v_dual_add_f32 v1, v10, v18
	v_sub_f32_e32 v3, v10, v18
	v_fmac_f32_e32 v143, 0x3f5db3d7, v16
	v_fmamk_f32 v16, v12, 0xbf5db3d7, v146
	v_fmac_f32_e32 v146, 0x3f5db3d7, v12
	v_add_f32_e32 v10, v31, v38
	v_dual_sub_f32 v12, v31, v38 :: v_dual_mul_f32 v31, 0xbf5db3d7, v36
	v_mul_f32_e32 v33, -0.5, v36
	v_fma_f32 v27, -0.5, v58, v137
	v_dual_fmac_f32 v28, 0xbf5db3d7, v35 :: v_dual_mul_f32 v35, 0xbf5db3d7, v32
	v_mul_f32_e32 v103, 0.5, v17
	v_fmac_f32_e32 v29, 0.5, v40
	v_fmac_f32_e32 v30, 0x3f5db3d7, v40
	v_mul_f32_e32 v36, 0xbf5db3d7, v13
	v_mul_f32_e32 v38, 0.5, v13
	v_dual_mul_f32 v96, 0xbf5db3d7, v14 :: v_dual_fmac_f32 v31, -0.5, v143
	v_fmac_f32_e32 v33, 0x3f5db3d7, v143
	v_add_f32_e32 v9, v22, v37
	v_sub_f32_e32 v11, v22, v37
	v_fmamk_f32 v37, v34, 0xbf5db3d7, v27
	v_fmac_f32_e32 v27, 0x3f5db3d7, v34
	v_fmac_f32_e32 v35, -0.5, v146
	v_dual_add_f32 v13, v42, v29 :: v_dual_add_f32 v14, v53, v30
	v_fmac_f32_e32 v103, 0x3f5db3d7, v60
	v_fmac_f32_e32 v36, 0.5, v16
	v_fmac_f32_e32 v38, 0x3f5db3d7, v16
	v_fmac_f32_e32 v96, 0.5, v15
	v_add_f32_e32 v15, v19, v31
	v_add_f32_e32 v16, v119, v33
	;; [unrolled: 1-line block ×3, first 2 shown]
	v_fma_f32 v58, -0.5, v100, v141
	v_fmac_f32_e32 v24, 0xbf5db3d7, v43
	v_sub_f32_e32 v31, v19, v31
	v_add_f32_e32 v17, v27, v35
	v_sub_f32_e32 v19, v27, v35
	ds_store_2addr_b64 v84, v[0:1], v[13:14] offset1:60
	ds_store_2addr_b64 v84, v[15:16], v[2:3] offset0:120 offset1:180
	v_dual_sub_f32 v27, v91, v92 :: v_dual_sub_f32 v16, v56, v103
	v_fmac_f32_e32 v151, -0.5, v107
	v_dual_add_f32 v106, v41, v91 :: v_dual_fmac_f32 v41, -0.5, v105
	v_fmac_f32_e32 v147, 0x3f5db3d7, v8
	s_delay_alu instid0(VALU_DEP_3)
	v_dual_fmamk_f32 v8, v26, 0xbf5db3d7, v58 :: v_dual_fmamk_f32 v93, v112, 0xbf5db3d7, v151
	v_dual_fmac_f32 v151, 0x3f5db3d7, v112 :: v_dual_fmac_f32 v58, 0x3f5db3d7, v26
	v_mul_f32_e32 v26, -0.5, v24
	v_dual_mul_f32 v34, -0.5, v90 :: v_dual_mul_f32 v101, 0xbf5db3d7, v24
	v_add_f32_e32 v2, v95, v89
	v_fmac_f32_e32 v102, 0.5, v60
	v_fmamk_f32 v60, v27, 0xbf5db3d7, v61
	v_fmac_f32_e32 v61, 0x3f5db3d7, v27
	v_dual_mul_f32 v27, 0xbf5db3d7, v90 :: v_dual_mul_f32 v90, 0xbf5db3d7, v88
	v_dual_mul_f32 v88, 0.5, v88 :: v_dual_sub_f32 v111, v152, v87
	v_mul_f32_e32 v20, -0.5, v32
	v_fmac_f32_e32 v26, 0x3f5db3d7, v150
	v_dual_fmac_f32 v34, 0x3f5db3d7, v151 :: v_dual_fmac_f32 v101, -0.5, v150
	s_delay_alu instid0(VALU_DEP_4)
	v_fmamk_f32 v43, v111, 0x3f5db3d7, v41
	v_fmac_f32_e32 v41, 0xbf5db3d7, v111
	v_dual_add_f32 v3, v97, v21 :: v_dual_add_f32 v0, v55, v2
	v_dual_sub_f32 v2, v55, v2 :: v_dual_fmac_f32 v27, -0.5, v151
	v_and_b32_e32 v55, 0xffff, v86
	v_mul_f32_e32 v99, 0xbf5db3d7, v28
	v_mul_f32_e32 v100, -0.5, v28
	v_fmac_f32_e32 v20, 0x3f5db3d7, v146
	v_add_f32_e32 v22, v142, v26
	v_sub_f32_e32 v24, v142, v26
	v_add_f32_e32 v26, v41, v34
	v_sub_f32_e32 v28, v41, v34
	v_dual_sub_f32 v32, v119, v33 :: v_dual_add_f32 v33, v37, v36
	v_dual_add_f32 v34, v23, v38 :: v_dual_sub_f32 v35, v37, v36
	v_dual_sub_f32 v36, v23, v38 :: v_dual_add_f32 v21, v58, v101
	v_sub_f32_e32 v23, v58, v101
	v_add_f32_e32 v1, v57, v3
	v_sub_f32_e32 v3, v57, v3
	v_dual_add_f32 v57, v106, v92 :: v_dual_add_f32 v58, v108, v59
	v_add_f32_e32 v59, v110, v25
	v_dual_fmac_f32 v88, 0x3f5db3d7, v93 :: v_dual_add_f32 v25, v61, v27
	v_sub_f32_e32 v27, v61, v27
	v_mul_u32_u24_e32 v61, 0xb40, v55
	v_add_f32_e32 v18, v138, v20
	v_dual_sub_f32 v29, v42, v29 :: v_dual_sub_f32 v30, v53, v30
	v_add_f32_e32 v55, v57, v59
	v_sub_f32_e32 v57, v57, v59
	v_add3_u32 v78, 0, v61, v78
	v_add_f32_e32 v59, v43, v88
	v_add_nc_u32_e32 v84, 0x400, v84
	v_sub_f32_e32 v61, v43, v88
	v_mul_u32_u24_e32 v43, 0xb40, v85
	v_dual_fmamk_f32 v94, v118, 0x3f5db3d7, v54 :: v_dual_lshlrev_b32 v83, 3, v83
	v_dual_fmac_f32 v54, 0xbf5db3d7, v118 :: v_dual_fmac_f32 v99, -0.5, v147
	v_fmac_f32_e32 v100, 0x3f5db3d7, v147
	ds_store_2addr_b64 v84, v[29:30], v[31:32] offset0:112 offset1:172
	ds_store_2addr_b64 v78, v[4:5], v[33:34] offset1:60
	ds_store_2addr_b64 v78, v[17:18], v[6:7] offset0:120 offset1:180
	v_add3_u32 v5, 0, v43, v83
	v_mul_u32_u24_e32 v6, 0xb40, v80
	v_dual_sub_f32 v20, v138, v20 :: v_dual_lshlrev_b32 v7, 3, v82
	v_dual_add_f32 v37, v39, v96 :: v_dual_add_nc_u32 v4, 0x400, v78
	v_dual_add_f32 v38, v94, v98 :: v_dual_sub_f32 v39, v39, v96
	v_dual_sub_f32 v40, v94, v98 :: v_dual_add_f32 v41, v52, v99
	v_dual_sub_f32 v52, v52, v99 :: v_dual_sub_f32 v53, v54, v100
	v_add_f32_e32 v13, v8, v102
	v_add_f32_e32 v14, v56, v103
	v_dual_sub_f32 v15, v8, v102 :: v_dual_add_nc_u32 v8, 0x2a0, v44
	v_add_nc_u32_e32 v18, 0x400, v5
	v_add3_u32 v6, 0, v6, v7
	v_add_f32_e32 v42, v54, v100
	ds_store_2addr_b64 v4, v[35:36], v[19:20] offset0:112 offset1:172
	v_mul_u32_u24_e32 v4, 0xb40, v79
	v_lshlrev_b32_e32 v17, 3, v81
	ds_store_2addr_b64 v5, v[9:10], v[37:38] offset1:60
	ds_store_2addr_b64 v5, v[41:42], v[11:12] offset0:120 offset1:180
	ds_store_2addr_b64 v18, v[39:40], v[52:53] offset0:112 offset1:172
	ds_store_2addr_b64 v6, v[0:1], v[13:14] offset1:60
	ds_store_2addr_b64 v6, v[21:22], v[2:3] offset0:120 offset1:180
	v_and_b32_e32 v0, 0xffff, v8
	v_add_f32_e32 v56, v113, v87
	v_fmac_f32_e32 v90, 0.5, v93
	v_add3_u32 v4, 0, v4, v17
	v_add_nc_u32_e32 v5, 0x400, v6
	v_mul_u32_u24_e32 v0, 0x2d83, v0
	v_add_f32_e32 v54, v56, v58
	v_sub_f32_e32 v56, v56, v58
	v_add_f32_e32 v58, v60, v90
	v_dual_sub_f32 v60, v60, v90 :: v_dual_add_nc_u32 v1, 0x400, v4
	v_or_b32_e32 v89, 0x300, v44
	v_lshrrev_b32_e32 v11, 22, v0
	ds_store_2addr_b64 v5, v[15:16], v[23:24] offset0:112 offset1:172
	ds_store_2addr_b64 v4, v[54:55], v[58:59] offset1:60
	ds_store_2addr_b64 v4, v[25:26], v[56:57] offset0:120 offset1:180
	v_mov_b32_e32 v10, v45
	ds_store_2addr_b64 v1, v[60:61], v[27:28] offset0:112 offset1:172
	v_add_nc_u32_e32 v1, 0xffffffb8, v44
	v_mul_lo_u16 v2, 0x168, v11
	v_and_b32_e32 v7, 0xffff, v89
	v_add_nc_u32_e32 v87, 0x360, v44
	v_add_nc_u32_e32 v91, 0x3c0, v44
	s_wait_alu 0xf1ff
	v_cndmask_b32_e64 v9, v1, v77, s0
	v_sub_nc_u16 v6, v8, v2
	v_mul_u32_u24_e32 v7, 0x2d83, v7
	v_and_b32_e32 v12, 0xffff, v87
	v_add_co_u32 v0, s0, s4, v50
	v_lshlrev_b64_e32 v[2:3], 3, v[9:10]
	v_and_b32_e32 v6, 0xffff, v6
	v_lshrrev_b32_e32 v13, 22, v7
	s_wait_alu 0xf1ff
	v_add_co_ci_u32_e64 v1, s0, s5, v51, s0
	v_mul_u32_u24_e32 v10, 0x2d83, v12
	v_add_co_u32 v2, s0, s4, v2
	v_lshlrev_b32_e32 v12, 3, v6
	v_mul_lo_u16 v13, 0x168, v13
	s_wait_alu 0xf1ff
	v_add_co_ci_u32_e64 v3, s0, s5, v3, s0
	v_and_b32_e32 v14, 0xffff, v91
	v_add_nc_u32_e32 v92, 0x420, v44
	global_wb scope:SCOPE_SE
	s_wait_dscnt 0x0
	s_barrier_signal -1
	s_barrier_wait -1
	global_inv scope:SCOPE_SE
	s_clause 0x6
	global_load_b64 v[4:5], v[0:1], off offset:4336
	global_load_b64 v[6:7], v[0:1], off offset:3760
	;; [unrolled: 1-line block ×4, first 2 shown]
	global_load_b64 v[93:94], v12, s[4:5] offset:2800
	global_load_b64 v[95:96], v[2:3], off offset:2800
	global_load_b64 v[97:98], v[0:1], off offset:4528
	v_sub_nc_u16 v2, v89, v13
	v_or_b32_e32 v99, 0x480, v44
	v_mul_u32_u24_e32 v14, 0x2d83, v14
	v_add_nc_u32_e32 v86, 0x4e0, v44
	v_and_b32_e32 v15, 0xffff, v92
	v_and_b32_e32 v2, 0xffff, v2
	v_add_nc_u32_e32 v100, 0x540, v44
	v_lshrrev_b32_e32 v3, 22, v14
	v_and_b32_e32 v14, 0xffff, v99
	v_mul_u32_u24_e32 v13, 0x2d83, v15
	v_lshlrev_b32_e32 v15, 3, v2
	v_and_b32_e32 v2, 0xffff, v86
	v_and_b32_e32 v16, 0xffff, v100
	v_mul_u32_u24_e32 v14, 0x2d83, v14
	v_mul_lo_u16 v3, 0x168, v3
	v_lshrrev_b32_e32 v13, 22, v13
	v_mul_u32_u24_e32 v2, 0x2d83, v2
	v_mul_u32_u24_e32 v16, 0x2d83, v16
	v_lshrrev_b32_e32 v14, 22, v14
	v_lshrrev_b32_e32 v10, 22, v10
	v_sub_nc_u16 v3, v91, v3
	v_lshrrev_b32_e32 v2, 22, v2
	v_lshrrev_b32_e32 v16, 22, v16
	v_mul_lo_u16 v14, 0x168, v14
	v_mul_lo_u16 v17, 0x168, v13
	;; [unrolled: 1-line block ×4, first 2 shown]
	v_and_b32_e32 v3, 0xffff, v3
	v_sub_nc_u16 v14, v99, v14
	v_mul_lo_u16 v16, 0x168, v16
	v_sub_nc_u16 v17, v92, v17
	v_sub_nc_u16 v10, v87, v10
	v_sub_nc_u16 v2, v86, v2
	v_lshlrev_b32_e32 v18, 3, v3
	v_and_b32_e32 v3, 0xffff, v14
	v_sub_nc_u16 v14, v100, v16
	v_and_b32_e32 v17, 0xffff, v17
	v_and_b32_e32 v10, 0xffff, v10
	;; [unrolled: 1-line block ×3, first 2 shown]
	v_add_co_u32 v2, s0, s4, v48
	v_and_b32_e32 v14, 0xffff, v14
	v_lshlrev_b32_e32 v17, 3, v17
	v_lshlrev_b32_e32 v16, 3, v3
	s_wait_alu 0xf1ff
	v_add_co_ci_u32_e64 v3, s0, s5, v49, s0
	v_lshlrev_b32_e32 v10, 3, v10
	v_lshlrev_b32_e32 v19, 3, v19
	;; [unrolled: 1-line block ×3, first 2 shown]
	s_clause 0x7
	global_load_b64 v[99:100], v15, s[4:5] offset:2800
	global_load_b64 v[101:102], v10, s[4:5] offset:2800
	;; [unrolled: 1-line block ×5, first 2 shown]
	global_load_b64 v[109:110], v[2:3], off offset:2800
	global_load_b64 v[111:112], v19, s[4:5] offset:2800
	global_load_b64 v[113:114], v115, s[4:5] offset:2800
	v_mul_u32_u24_e32 v11, 0x1680, v11
	v_mul_u32_u24_e32 v13, 0x1680, v13
	v_cmp_lt_u32_e64 s0, 0x47, v44
	v_add_nc_u32_e32 v121, 0, v10
	v_lshlrev_b32_e32 v20, 3, v9
	v_add3_u32 v119, 0, v11, v12
	v_add3_u32 v123, 0, v13, v17
	ds_load_2addr_b64 v[10:13], v74 offset1:96
	s_wait_alu 0xf1ff
	v_cndmask_b32_e64 v14, 0, 0x1680, s0
	v_add_nc_u32_e32 v120, 0, v15
	v_add_nc_u32_e32 v122, 0, v18
	;; [unrolled: 1-line block ×4, first 2 shown]
	v_add3_u32 v118, 0, v14, v20
	ds_load_2addr_b64 v[14:17], v69 offset0:64 offset1:160
	ds_load_2addr_b64 v[18:21], v70 offset0:128 offset1:224
	ds_load_2addr_b64 v[22:25], v62 offset1:96
	ds_load_2addr_b64 v[26:29], v67 offset0:64 offset1:160
	ds_load_2addr_b64 v[30:33], v75 offset0:64 offset1:160
	ds_load_2addr_b64 v[34:37], v66 offset1:96
	ds_load_2addr_b64 v[38:41], v71 offset0:64 offset1:160
	ds_load_2addr_b64 v[48:51], v76 offset0:128 offset1:224
	;; [unrolled: 1-line block ×5, first 2 shown]
	ds_load_2addr_b64 v[81:84], v68 offset1:96
	ds_load_2addr_b64 v[85:88], v72 offset0:64 offset1:160
	ds_load_2addr_b64 v[89:92], v64 offset0:128 offset1:224
	global_wb scope:SCOPE_SE
	s_wait_loadcnt_dscnt 0x0
	s_barrier_signal -1
	s_barrier_wait -1
	global_inv scope:SCOPE_SE
	v_add_nc_u32_e32 v117, 0x1400, v62
	v_add_nc_u32_e32 v9, 0x2400, v62
	v_cmp_gt_u32_e64 s0, 48, v44
	v_mul_f32_e32 v130, v19, v7
	v_mul_f32_e32 v126, v43, v11
	;; [unrolled: 1-line block ×4, first 2 shown]
	v_dual_mul_f32 v5, v12, v5 :: v_dual_mul_f32 v128, v15, v96
	v_dual_mul_f32 v96, v14, v96 :: v_dual_mul_f32 v129, v17, v61
	v_mul_f32_e32 v61, v16, v61
	v_mul_f32_e32 v7, v18, v7
	;; [unrolled: 1-line block ×6, first 2 shown]
	v_fmac_f32_e32 v126, v42, v10
	v_fma_f32 v10, v42, v11, -v43
	v_fma_f32 v11, v13, v4, -v5
	v_dual_fmac_f32 v127, v12, v4 :: v_dual_fmac_f32 v128, v14, v95
	v_fma_f32 v13, v15, v95, -v96
	v_fmac_f32_e32 v129, v16, v60
	v_fma_f32 v15, v17, v60, -v61
	v_fmac_f32_e32 v130, v18, v6
	;; [unrolled: 2-line block ×4, first 2 shown]
	v_fma_f32 v21, v31, v93, -v94
	v_sub_f32_e32 v6, v24, v126
	v_dual_sub_f32 v7, v25, v10 :: v_dual_sub_f32 v10, v52, v127
	v_dual_sub_f32 v11, v53, v11 :: v_dual_sub_f32 v12, v54, v128
	v_sub_f32_e32 v13, v55, v13
	v_dual_sub_f32 v14, v56, v129 :: v_dual_sub_f32 v15, v57, v15
	v_dual_sub_f32 v16, v58, v130 :: v_dual_sub_f32 v17, v59, v17
	v_sub_f32_e32 v18, v77, v131
	v_dual_sub_f32 v19, v78, v19 :: v_dual_sub_f32 v20, v79, v132
	v_sub_f32_e32 v21, v80, v21
	v_fma_f32 v24, v24, 2.0, -v6
	v_fma_f32 v25, v25, 2.0, -v7
	ds_store_2addr_b64 v116, v[6:7], v[10:11] offset0:72 offset1:168
	v_fma_f32 v6, v52, 2.0, -v10
	v_fma_f32 v7, v53, 2.0, -v11
	;; [unrolled: 1-line block ×7, first 2 shown]
	v_mul_f32_e32 v133, v33, v100
	v_mul_f32_e32 v100, v32, v100
	;; [unrolled: 1-line block ×5, first 2 shown]
	v_dual_mul_f32 v102, v34, v102 :: v_dual_mul_f32 v135, v37, v104
	v_mul_f32_e32 v104, v36, v104
	v_mul_f32_e32 v136, v39, v106
	v_dual_mul_f32 v106, v38, v106 :: v_dual_mul_f32 v137, v41, v108
	v_mul_f32_e32 v108, v40, v108
	v_fmac_f32_e32 v138, v109, v28
	v_fma_f32 v5, v109, v29, -v110
	v_mul_f32_e32 v139, v49, v112
	v_mul_f32_e32 v112, v48, v112
	v_mul_f32_e32 v140, v51, v114
	v_dual_mul_f32 v114, v50, v114 :: v_dual_fmac_f32 v133, v32, v99
	v_fma_f32 v30, v33, v99, -v100
	v_fmac_f32_e32 v134, v34, v101
	v_fma_f32 v31, v35, v101, -v102
	v_fmac_f32_e32 v135, v36, v103
	;; [unrolled: 2-line block ×4, first 2 shown]
	v_fma_f32 v37, v41, v107, -v108
	v_dual_sub_f32 v4, v22, v138 :: v_dual_sub_f32 v5, v23, v5
	v_fmac_f32_e32 v139, v48, v111
	v_fma_f32 v39, v49, v111, -v112
	v_fmac_f32_e32 v140, v50, v113
	v_fma_f32 v41, v51, v113, -v114
	v_dual_sub_f32 v28, v81, v133 :: v_dual_sub_f32 v29, v82, v30
	v_dual_sub_f32 v30, v83, v134 :: v_dual_sub_f32 v31, v84, v31
	;; [unrolled: 1-line block ×4, first 2 shown]
	v_sub_f32_e32 v36, v89, v137
	v_sub_f32_e32 v37, v90, v37
	v_fma_f32 v22, v22, 2.0, -v4
	v_fma_f32 v23, v23, 2.0, -v5
	v_sub_f32_e32 v38, v91, v139
	v_dual_sub_f32 v39, v92, v39 :: v_dual_sub_f32 v40, v26, v140
	v_sub_f32_e32 v41, v27, v41
	v_fma_f32 v48, v58, 2.0, -v16
	v_fma_f32 v49, v59, 2.0, -v17
	;; [unrolled: 1-line block ×15, first 2 shown]
	ds_store_2addr_b64 v62, v[22:23], v[24:25] offset1:96
	ds_store_2addr_b64 v65, v[6:7], v[4:5] offset0:64 offset1:232
	ds_store_b64 v118, v[10:11]
	ds_store_b64 v118, v[12:13] offset:2880
	ds_store_2addr_b64 v117, v[42:43], v[48:49] offset0:104 offset1:200
	ds_store_2addr_b64 v72, v[50:51], v[14:15] offset0:40 offset1:208
	;; [unrolled: 1-line block ×3, first 2 shown]
	ds_store_b64 v119, v[52:53]
	ds_store_b64 v119, v[20:21] offset:2880
	ds_store_b64 v120, v[54:55] offset:11520
	;; [unrolled: 1-line block ×7, first 2 shown]
	ds_store_b64 v123, v[60:61]
	ds_store_b64 v123, v[34:35] offset:2880
	v_subrev_nc_u32_e32 v5, 48, v44
	v_fma_f32 v79, v91, 2.0, -v38
	v_fma_f32 v80, v92, 2.0, -v39
	;; [unrolled: 1-line block ×4, first 2 shown]
	v_add_nc_u32_e32 v4, 0, v115
	ds_store_b64 v124, v[77:78] offset:17280
	ds_store_b64 v124, v[36:37] offset:20160
	;; [unrolled: 1-line block ×6, first 2 shown]
	s_wait_alu 0xf1ff
	v_cndmask_b32_e64 v4, v5, v8, s0
	v_mov_b32_e32 v5, v45
	global_wb scope:SCOPE_SE
	s_wait_dscnt 0x0
	s_barrier_signal -1
	s_barrier_wait -1
	global_inv scope:SCOPE_SE
	v_lshlrev_b64_e32 v[5:6], 3, v[4:5]
	s_clause 0x3
	global_load_b64 v[42:43], v[0:1], off offset:6448
	global_load_b64 v[60:61], v[0:1], off offset:7216
	;; [unrolled: 1-line block ×4, first 2 shown]
	v_lshlrev_b32_e32 v10, 3, v4
	v_add_nc_u32_e32 v115, 0x2c00, v62
	v_add_co_u32 v5, s0, s4, v5
	s_wait_alu 0xf1ff
	v_add_co_ci_u32_e64 v6, s0, s5, v6, s0
	s_clause 0xa
	global_load_b64 v[93:94], v[0:1], off offset:9520
	global_load_b64 v[95:96], v[0:1], off offset:10288
	;; [unrolled: 1-line block ×11, first 2 shown]
	v_cmp_lt_u32_e64 s0, 47, v44
	ds_load_2addr_b64 v[4:7], v74 offset1:96
	s_wait_alu 0xf1ff
	v_cndmask_b32_e64 v8, 0, 0x2d00, s0
	s_delay_alu instid0(VALU_DEP_1)
	v_add3_u32 v8, 0, v8, v10
	ds_load_2addr_b64 v[10:13], v69 offset0:64 offset1:160
	ds_load_2addr_b64 v[14:17], v70 offset0:128 offset1:224
	ds_load_2addr_b64 v[18:21], v62 offset1:96
	ds_load_2addr_b64 v[22:25], v67 offset0:64 offset1:160
	ds_load_2addr_b64 v[26:29], v65 offset0:64 offset1:160
	;; [unrolled: 1-line block ×4, first 2 shown]
	ds_load_2addr_b64 v[38:41], v66 offset1:96
	ds_load_2addr_b64 v[48:51], v71 offset0:64 offset1:160
	ds_load_2addr_b64 v[52:55], v76 offset0:128 offset1:224
	;; [unrolled: 1-line block ×3, first 2 shown]
	ds_load_2addr_b64 v[77:80], v68 offset1:96
	ds_load_2addr_b64 v[81:84], v72 offset0:64 offset1:160
	ds_load_2addr_b64 v[85:88], v64 offset0:128 offset1:224
	global_wb scope:SCOPE_SE
	s_wait_loadcnt_dscnt 0x0
	s_barrier_signal -1
	s_barrier_wait -1
	global_inv scope:SCOPE_SE
	v_mul_f32_e32 v116, v43, v5
	v_mul_f32_e32 v43, v43, v4
	;; [unrolled: 1-line block ×5, first 2 shown]
	v_dual_mul_f32 v90, v10, v90 :: v_dual_mul_f32 v121, v17, v96
	v_mul_f32_e32 v96, v16, v96
	v_mul_f32_e32 v122, v35, v98
	;; [unrolled: 1-line block ×4, first 2 shown]
	v_dual_mul_f32 v108, v108, v24 :: v_dual_mul_f32 v123, v37, v102
	v_mul_f32_e32 v102, v36, v102
	v_mul_f32_e32 v124, v39, v100
	v_dual_mul_f32 v100, v38, v100 :: v_dual_mul_f32 v125, v41, v106
	v_dual_mul_f32 v106, v40, v106 :: v_dual_mul_f32 v127, v49, v104
	v_mul_f32_e32 v104, v48, v104
	v_mul_f32_e32 v128, v51, v112
	v_dual_mul_f32 v112, v50, v112 :: v_dual_mul_f32 v129, v53, v110
	v_dual_mul_f32 v110, v52, v110 :: v_dual_mul_f32 v119, v13, v92
	v_mul_f32_e32 v92, v12, v92
	v_mul_f32_e32 v120, v15, v94
	;; [unrolled: 1-line block ×5, first 2 shown]
	v_fmac_f32_e32 v116, v42, v4
	v_fma_f32 v42, v42, v5, -v43
	v_fmac_f32_e32 v126, v107, v24
	v_fma_f32 v5, v107, v25, -v108
	;; [unrolled: 2-line block ×15, first 2 shown]
	v_dual_sub_f32 v4, v18, v126 :: v_dual_sub_f32 v5, v19, v5
	v_dual_sub_f32 v6, v20, v116 :: v_dual_sub_f32 v7, v21, v42
	;; [unrolled: 1-line block ×8, first 2 shown]
	v_sub_f32_e32 v40, v81, v125
	v_dual_sub_f32 v41, v82, v41 :: v_dual_sub_f32 v42, v83, v127
	v_sub_f32_e32 v43, v84, v48
	v_dual_sub_f32 v48, v85, v128 :: v_dual_sub_f32 v49, v86, v49
	v_dual_sub_f32 v50, v87, v129 :: v_dual_sub_f32 v51, v88, v51
	;; [unrolled: 1-line block ×5, first 2 shown]
	v_fma_f32 v18, v18, 2.0, -v4
	v_fma_f32 v19, v19, 2.0, -v5
	;; [unrolled: 1-line block ×30, first 2 shown]
	ds_store_2addr_b64 v68, v[6:7], v[10:11] offset0:48 offset1:144
	ds_store_2addr_b64 v72, v[12:13], v[14:15] offset0:112 offset1:208
	;; [unrolled: 1-line block ×3, first 2 shown]
	ds_store_2addr_b64 v62, v[18:19], v[20:21] offset1:96
	ds_store_2addr_b64 v65, v[26:27], v[28:29] offset0:64 offset1:160
	ds_store_2addr_b64 v73, v[30:31], v[32:33] offset0:128 offset1:224
	;; [unrolled: 1-line block ×3, first 2 shown]
	ds_store_b64 v8, v[56:57]
	ds_store_b64 v8, v[34:35] offset:5760
	ds_store_2addr_b64 v115, v[58:59], v[60:61] offset0:80 offset1:176
	ds_store_2addr_b64 v66, v[38:39], v[40:41] offset1:96
	ds_store_2addr_b64 v74, v[77:78], v[79:80] offset0:144 offset1:240
	ds_store_2addr_b64 v71, v[42:43], v[48:49] offset0:64 offset1:160
	;; [unrolled: 1-line block ×5, first 2 shown]
	global_wb scope:SCOPE_SE
	s_wait_dscnt 0x0
	s_barrier_signal -1
	s_barrier_wait -1
	global_inv scope:SCOPE_SE
	s_clause 0xe
	global_load_b64 v[60:61], v[0:1], off offset:12208
	global_load_b64 v[81:82], v[0:1], off offset:12976
	global_load_b64 v[83:84], v[0:1], off offset:13744
	global_load_b64 v[85:86], v[0:1], off offset:14512
	global_load_b64 v[87:88], v[0:1], off offset:15280
	global_load_b64 v[89:90], v[0:1], off offset:16048
	global_load_b64 v[91:92], v[0:1], off offset:16816
	global_load_b64 v[93:94], v[0:1], off offset:17584
	global_load_b64 v[95:96], v[0:1], off offset:18352
	global_load_b64 v[97:98], v[0:1], off offset:19120
	global_load_b64 v[99:100], v[0:1], off offset:19888
	global_load_b64 v[101:102], v[2:3], off offset:11440
	global_load_b64 v[103:104], v[0:1], off offset:20656
	global_load_b64 v[105:106], v[0:1], off offset:21424
	global_load_b64 v[107:108], v[0:1], off offset:22192
	ds_load_2addr_b64 v[0:3], v74 offset1:96
	ds_load_2addr_b64 v[4:7], v69 offset0:64 offset1:160
	ds_load_2addr_b64 v[8:11], v62 offset1:96
	ds_load_2addr_b64 v[12:15], v70 offset0:128 offset1:224
	ds_load_2addr_b64 v[16:19], v67 offset0:64 offset1:160
	ds_load_2addr_b64 v[20:23], v65 offset0:64 offset1:160
	ds_load_2addr_b64 v[24:27], v73 offset0:128 offset1:224
	ds_load_2addr_b64 v[28:31], v63 offset0:64 offset1:160
	ds_load_2addr_b64 v[32:35], v75 offset0:64 offset1:160
	ds_load_2addr_b64 v[36:39], v68 offset1:96
	ds_load_2addr_b64 v[40:43], v66 offset1:96
	ds_load_2addr_b64 v[48:51], v71 offset0:64 offset1:160
	ds_load_2addr_b64 v[52:55], v76 offset0:128 offset1:224
	ds_load_2addr_b64 v[56:59], v72 offset0:64 offset1:160
	ds_load_2addr_b64 v[77:80], v64 offset0:128 offset1:224
	global_wb scope:SCOPE_SE
	s_wait_loadcnt_dscnt 0x0
	s_barrier_signal -1
	s_barrier_wait -1
	global_inv scope:SCOPE_SE
	v_mul_f32_e32 v109, v61, v1
	v_dual_mul_f32 v61, v61, v0 :: v_dual_mul_f32 v110, v82, v3
	v_dual_mul_f32 v82, v82, v2 :: v_dual_mul_f32 v111, v5, v84
	v_mul_f32_e32 v84, v4, v84
	v_mul_f32_e32 v112, v7, v86
	v_dual_mul_f32 v86, v6, v86 :: v_dual_mul_f32 v113, v13, v88
	v_mul_f32_e32 v88, v12, v88
	v_mul_f32_e32 v114, v15, v90
	v_dual_mul_f32 v90, v14, v90 :: v_dual_mul_f32 v115, v33, v92
	v_mul_f32_e32 v92, v32, v92
	v_mul_f32_e32 v116, v35, v94
	v_dual_mul_f32 v94, v34, v94 :: v_dual_mul_f32 v117, v41, v96
	v_mul_f32_e32 v96, v40, v96
	v_mul_f32_e32 v118, v43, v98
	v_dual_mul_f32 v98, v42, v98 :: v_dual_mul_f32 v119, v49, v100
	v_mul_f32_e32 v100, v48, v100
	v_dual_mul_f32 v120, v102, v19 :: v_dual_mul_f32 v121, v51, v104
	v_mul_f32_e32 v104, v50, v104
	v_mul_f32_e32 v102, v102, v18
	;; [unrolled: 1-line block ×3, first 2 shown]
	v_dual_mul_f32 v106, v52, v106 :: v_dual_mul_f32 v123, v55, v108
	v_mul_f32_e32 v108, v54, v108
	v_fmac_f32_e32 v109, v60, v0
	v_fma_f32 v60, v60, v1, -v61
	v_fmac_f32_e32 v110, v81, v2
	v_fma_f32 v61, v81, v3, -v82
	;; [unrolled: 2-line block ×15, first 2 shown]
	v_dual_sub_f32 v0, v8, v120 :: v_dual_sub_f32 v1, v9, v1
	v_sub_f32_e32 v2, v10, v109
	s_delay_alu instid0(VALU_DEP_4)
	v_dual_sub_f32 v54, v16, v123 :: v_dual_sub_f32 v3, v11, v60
	v_dual_sub_f32 v4, v20, v110 :: v_dual_sub_f32 v5, v21, v61
	;; [unrolled: 1-line block ×8, first 2 shown]
	v_sub_f32_e32 v40, v38, v117
	v_dual_sub_f32 v41, v39, v41 :: v_dual_sub_f32 v42, v56, v118
	v_sub_f32_e32 v43, v57, v43
	v_dual_sub_f32 v48, v58, v119 :: v_dual_sub_f32 v49, v59, v49
	v_dual_sub_f32 v50, v77, v121 :: v_dual_sub_f32 v51, v78, v51
	;; [unrolled: 1-line block ×3, first 2 shown]
	v_sub_f32_e32 v55, v17, v55
	v_fma_f32 v8, v8, 2.0, -v0
	v_fma_f32 v9, v9, 2.0, -v1
	;; [unrolled: 1-line block ×30, first 2 shown]
	ds_store_2addr_b64 v74, v[2:3], v[4:5] offset1:96
	ds_store_2addr_b64 v69, v[6:7], v[12:13] offset0:64 offset1:160
	ds_store_2addr_b64 v70, v[14:15], v[18:19] offset0:128 offset1:224
	;; [unrolled: 1-line block ×3, first 2 shown]
	ds_store_2addr_b64 v66, v[40:41], v[42:43] offset1:96
	ds_store_2addr_b64 v71, v[48:49], v[50:51] offset0:64 offset1:160
	ds_store_2addr_b64 v76, v[52:53], v[54:55] offset0:128 offset1:224
	ds_store_2addr_b64 v62, v[8:9], v[10:11] offset1:96
	ds_store_2addr_b64 v65, v[20:21], v[22:23] offset0:64 offset1:160
	ds_store_2addr_b64 v73, v[24:25], v[26:27] offset0:128 offset1:224
	;; [unrolled: 1-line block ×3, first 2 shown]
	ds_store_2addr_b64 v68, v[36:37], v[38:39] offset1:96
	ds_store_2addr_b64 v72, v[56:57], v[58:59] offset0:64 offset1:160
	ds_store_2addr_b64 v64, v[60:61], v[77:78] offset0:128 offset1:224
	;; [unrolled: 1-line block ×3, first 2 shown]
	global_wb scope:SCOPE_SE
	s_wait_dscnt 0x0
	s_barrier_signal -1
	s_barrier_wait -1
	global_inv scope:SCOPE_SE
	s_and_saveexec_b32 s0, vcc_lo
	s_cbranch_execz .LBB0_19
; %bb.18:
	v_lshl_add_u32 v20, v44, 3, 0
	v_lshlrev_b64_e32 v[4:5], 3, v[44:45]
	v_add_co_u32 v24, vcc_lo, s8, v46
	s_wait_alu 0xfffd
	v_add_co_ci_u32_e32 v25, vcc_lo, s9, v47, vcc_lo
	v_dual_mov_b32 v7, v45 :: v_dual_add_nc_u32 v6, 0x60, v44
	v_dual_mov_b32 v15, v45 :: v_dual_add_nc_u32 v14, 0x400, v20
	ds_load_2addr_b64 v[0:3], v20 offset1:96
	v_add_co_u32 v10, vcc_lo, v24, v4
	v_dual_mov_b32 v9, v45 :: v_dual_add_nc_u32 v8, 0xc0, v44
	s_wait_alu 0xfffd
	v_add_co_ci_u32_e32 v11, vcc_lo, v25, v5, vcc_lo
	v_lshlrev_b64_e32 v[12:13], 3, v[6:7]
	ds_load_2addr_b64 v[4:7], v14 offset0:64 offset1:160
	v_dual_mov_b32 v17, v45 :: v_dual_add_nc_u32 v14, 0x120, v44
	v_lshlrev_b64_e32 v[8:9], 3, v[8:9]
	v_add_nc_u32_e32 v16, 0x180, v44
	v_add_co_u32 v12, vcc_lo, v24, v12
	s_delay_alu instid0(VALU_DEP_4)
	v_lshlrev_b64_e32 v[14:15], 3, v[14:15]
	s_wait_alu 0xfffd
	v_add_co_ci_u32_e32 v13, vcc_lo, v25, v13, vcc_lo
	v_add_co_u32 v8, vcc_lo, v24, v8
	s_wait_alu 0xfffd
	v_add_co_ci_u32_e32 v9, vcc_lo, v25, v9, vcc_lo
	v_add_co_u32 v14, vcc_lo, v24, v14
	s_wait_alu 0xfffd
	v_add_co_ci_u32_e32 v15, vcc_lo, v25, v15, vcc_lo
	s_wait_dscnt 0x1
	s_clause 0x1
	global_store_b64 v[10:11], v[0:1], off
	global_store_b64 v[12:13], v[2:3], off
	s_wait_dscnt 0x0
	s_clause 0x1
	global_store_b64 v[8:9], v[4:5], off
	global_store_b64 v[14:15], v[6:7], off
	v_mov_b32_e32 v7, v45
	v_lshlrev_b64_e32 v[4:5], 3, v[16:17]
	v_dual_mov_b32 v9, v45 :: v_dual_add_nc_u32 v18, 0x800, v20
	v_dual_mov_b32 v15, v45 :: v_dual_add_nc_u32 v6, 0x1e0, v44
	v_add_nc_u32_e32 v14, 0x1000, v20
	ds_load_2addr_b64 v[0:3], v18 offset0:128 offset1:224
	v_add_co_u32 v10, vcc_lo, v24, v4
	v_add_nc_u32_e32 v8, 0x240, v44
	s_wait_alu 0xfffd
	v_add_co_ci_u32_e32 v11, vcc_lo, v25, v5, vcc_lo
	v_lshlrev_b64_e32 v[12:13], 3, v[6:7]
	ds_load_2addr_b64 v[4:7], v14 offset0:64 offset1:160
	v_add_nc_u32_e32 v14, 0x2a0, v44
	v_lshlrev_b64_e32 v[8:9], 3, v[8:9]
	v_add_nc_u32_e32 v16, 0x300, v44
	v_add_nc_u32_e32 v18, 0x1800, v20
	v_add_co_u32 v12, vcc_lo, v24, v12
	v_lshlrev_b64_e32 v[14:15], 3, v[14:15]
	s_wait_alu 0xfffd
	v_add_co_ci_u32_e32 v13, vcc_lo, v25, v13, vcc_lo
	v_add_co_u32 v8, vcc_lo, v24, v8
	s_wait_alu 0xfffd
	v_add_co_ci_u32_e32 v9, vcc_lo, v25, v9, vcc_lo
	v_add_co_u32 v14, vcc_lo, v24, v14
	s_wait_alu 0xfffd
	v_add_co_ci_u32_e32 v15, vcc_lo, v25, v15, vcc_lo
	s_wait_dscnt 0x1
	s_clause 0x1
	global_store_b64 v[10:11], v[0:1], off
	global_store_b64 v[12:13], v[2:3], off
	s_wait_dscnt 0x0
	s_clause 0x1
	global_store_b64 v[8:9], v[4:5], off
	global_store_b64 v[14:15], v[6:7], off
	v_lshlrev_b64_e32 v[4:5], 3, v[16:17]
	v_dual_mov_b32 v7, v45 :: v_dual_add_nc_u32 v6, 0x360, v44
	v_add_nc_u32_e32 v14, 0x1c00, v20
	ds_load_2addr_b64 v[0:3], v18 offset1:96
	v_add_nc_u32_e32 v8, 0x3c0, v44
	v_add_co_u32 v10, vcc_lo, v24, v4
	v_mov_b32_e32 v9, v45
	s_wait_alu 0xfffd
	v_add_co_ci_u32_e32 v11, vcc_lo, v25, v5, vcc_lo
	v_lshlrev_b64_e32 v[12:13], 3, v[6:7]
	ds_load_2addr_b64 v[4:7], v14 offset0:64 offset1:160
	v_dual_mov_b32 v15, v45 :: v_dual_add_nc_u32 v14, 0x420, v44
	v_lshlrev_b64_e32 v[8:9], 3, v[8:9]
	v_add_nc_u32_e32 v16, 0x480, v44
	v_add_co_u32 v12, vcc_lo, v24, v12
	s_delay_alu instid0(VALU_DEP_4)
	v_lshlrev_b64_e32 v[14:15], 3, v[14:15]
	s_wait_alu 0xfffd
	v_add_co_ci_u32_e32 v13, vcc_lo, v25, v13, vcc_lo
	v_add_co_u32 v8, vcc_lo, v24, v8
	s_wait_alu 0xfffd
	v_add_co_ci_u32_e32 v9, vcc_lo, v25, v9, vcc_lo
	v_add_co_u32 v14, vcc_lo, v24, v14
	s_wait_alu 0xfffd
	v_add_co_ci_u32_e32 v15, vcc_lo, v25, v15, vcc_lo
	s_wait_dscnt 0x1
	s_clause 0x1
	global_store_b64 v[10:11], v[0:1], off
	global_store_b64 v[12:13], v[2:3], off
	s_wait_dscnt 0x0
	s_clause 0x1
	global_store_b64 v[8:9], v[4:5], off
	global_store_b64 v[14:15], v[6:7], off
	v_lshlrev_b64_e32 v[4:5], 3, v[16:17]
	v_add_nc_u32_e32 v18, 0x2000, v20
	v_dual_mov_b32 v7, v45 :: v_dual_add_nc_u32 v6, 0x4e0, v44
	v_add_nc_u32_e32 v14, 0x2800, v20
	v_add_nc_u32_e32 v8, 0x540, v44
	ds_load_2addr_b64 v[0:3], v18 offset0:128 offset1:224
	v_add_co_u32 v10, vcc_lo, v24, v4
	v_mov_b32_e32 v9, v45
	s_wait_alu 0xfffd
	v_add_co_ci_u32_e32 v11, vcc_lo, v25, v5, vcc_lo
	v_lshlrev_b64_e32 v[12:13], 3, v[6:7]
	ds_load_2addr_b64 v[4:7], v14 offset0:64 offset1:160
	v_dual_mov_b32 v15, v45 :: v_dual_add_nc_u32 v14, 0x5a0, v44
	v_lshlrev_b64_e32 v[8:9], 3, v[8:9]
	v_dual_mov_b32 v19, v45 :: v_dual_add_nc_u32 v16, 0x600, v44
	v_add_co_u32 v12, vcc_lo, v24, v12
	s_delay_alu instid0(VALU_DEP_4)
	v_lshlrev_b64_e32 v[14:15], 3, v[14:15]
	s_wait_alu 0xfffd
	v_add_co_ci_u32_e32 v13, vcc_lo, v25, v13, vcc_lo
	v_add_co_u32 v8, vcc_lo, v24, v8
	s_wait_alu 0xfffd
	v_add_co_ci_u32_e32 v9, vcc_lo, v25, v9, vcc_lo
	v_add_co_u32 v14, vcc_lo, v24, v14
	s_wait_alu 0xfffd
	v_add_co_ci_u32_e32 v15, vcc_lo, v25, v15, vcc_lo
	s_wait_dscnt 0x1
	s_clause 0x1
	global_store_b64 v[10:11], v[0:1], off
	global_store_b64 v[12:13], v[2:3], off
	s_wait_dscnt 0x0
	s_clause 0x1
	global_store_b64 v[8:9], v[4:5], off
	global_store_b64 v[14:15], v[6:7], off
	v_lshlrev_b64_e32 v[4:5], 3, v[16:17]
	v_add_nc_u32_e32 v18, 0x3000, v20
	v_dual_mov_b32 v7, v45 :: v_dual_add_nc_u32 v6, 0x660, v44
	v_add_nc_u32_e32 v14, 0x3400, v20
	v_add_nc_u32_e32 v8, 0x6c0, v44
	ds_load_2addr_b64 v[0:3], v18 offset1:96
	v_add_co_u32 v10, vcc_lo, v24, v4
	v_mov_b32_e32 v9, v45
	s_wait_alu 0xfffd
	v_add_co_ci_u32_e32 v11, vcc_lo, v25, v5, vcc_lo
	v_lshlrev_b64_e32 v[12:13], 3, v[6:7]
	ds_load_2addr_b64 v[4:7], v14 offset0:64 offset1:160
	v_dual_mov_b32 v15, v45 :: v_dual_add_nc_u32 v14, 0x720, v44
	v_lshlrev_b64_e32 v[8:9], 3, v[8:9]
	v_add_nc_u32_e32 v16, 0x780, v44
	v_add_co_u32 v12, vcc_lo, v24, v12
	s_delay_alu instid0(VALU_DEP_4)
	v_lshlrev_b64_e32 v[14:15], 3, v[14:15]
	s_wait_alu 0xfffd
	v_add_co_ci_u32_e32 v13, vcc_lo, v25, v13, vcc_lo
	v_add_co_u32 v8, vcc_lo, v24, v8
	s_wait_alu 0xfffd
	v_add_co_ci_u32_e32 v9, vcc_lo, v25, v9, vcc_lo
	v_add_co_u32 v14, vcc_lo, v24, v14
	s_wait_alu 0xfffd
	v_add_co_ci_u32_e32 v15, vcc_lo, v25, v15, vcc_lo
	s_wait_dscnt 0x1
	s_clause 0x1
	global_store_b64 v[10:11], v[0:1], off
	global_store_b64 v[12:13], v[2:3], off
	s_wait_dscnt 0x0
	s_clause 0x1
	global_store_b64 v[8:9], v[4:5], off
	global_store_b64 v[14:15], v[6:7], off
	v_lshlrev_b64_e32 v[4:5], 3, v[16:17]
	v_add_nc_u32_e32 v18, 0x3800, v20
	v_dual_mov_b32 v7, v45 :: v_dual_add_nc_u32 v6, 0x7e0, v44
	v_add_nc_u32_e32 v14, 0x4000, v20
	v_add_nc_u32_e32 v8, 0x840, v44
	ds_load_2addr_b64 v[0:3], v18 offset0:128 offset1:224
	v_add_co_u32 v10, vcc_lo, v24, v4
	v_mov_b32_e32 v9, v45
	s_wait_alu 0xfffd
	v_add_co_ci_u32_e32 v11, vcc_lo, v25, v5, vcc_lo
	v_lshlrev_b64_e32 v[12:13], 3, v[6:7]
	ds_load_2addr_b64 v[4:7], v14 offset0:64 offset1:160
	v_dual_mov_b32 v15, v45 :: v_dual_add_nc_u32 v14, 0x8a0, v44
	v_lshlrev_b64_e32 v[8:9], 3, v[8:9]
	v_add_nc_u32_e32 v16, 0x900, v44
	v_add_co_u32 v12, vcc_lo, v24, v12
	s_delay_alu instid0(VALU_DEP_4)
	v_lshlrev_b64_e32 v[14:15], 3, v[14:15]
	s_wait_alu 0xfffd
	v_add_co_ci_u32_e32 v13, vcc_lo, v25, v13, vcc_lo
	v_add_co_u32 v8, vcc_lo, v24, v8
	s_wait_alu 0xfffd
	v_add_co_ci_u32_e32 v9, vcc_lo, v25, v9, vcc_lo
	v_add_co_u32 v14, vcc_lo, v24, v14
	s_wait_alu 0xfffd
	v_add_co_ci_u32_e32 v15, vcc_lo, v25, v15, vcc_lo
	s_wait_dscnt 0x1
	s_clause 0x1
	global_store_b64 v[10:11], v[0:1], off
	global_store_b64 v[12:13], v[2:3], off
	s_wait_dscnt 0x0
	s_clause 0x1
	global_store_b64 v[8:9], v[4:5], off
	global_store_b64 v[14:15], v[6:7], off
	v_dual_mov_b32 v5, v45 :: v_dual_add_nc_u32 v4, 0x960, v44
	v_lshlrev_b64_e32 v[16:17], 3, v[16:17]
	v_dual_mov_b32 v9, v45 :: v_dual_add_nc_u32 v8, 0x9c0, v44
	v_add_nc_u32_e32 v10, 0xa20, v44
	s_delay_alu instid0(VALU_DEP_4)
	v_lshlrev_b64_e32 v[4:5], 3, v[4:5]
	v_dual_mov_b32 v11, v45 :: v_dual_add_nc_u32 v18, 0x4800, v20
	v_add_co_u32 v12, vcc_lo, v24, v16
	v_lshlrev_b64_e32 v[8:9], 3, v[8:9]
	v_add_nc_u32_e32 v6, 0x4c00, v20
	s_wait_alu 0xfffd
	v_add_co_ci_u32_e32 v13, vcc_lo, v25, v17, vcc_lo
	v_add_co_u32 v14, vcc_lo, v24, v4
	v_lshlrev_b64_e32 v[16:17], 3, v[10:11]
	v_add_nc_u32_e32 v10, 0x5000, v20
	ds_load_2addr_b64 v[0:3], v18 offset1:96
	s_wait_alu 0xfffd
	v_add_co_ci_u32_e32 v15, vcc_lo, v25, v5, vcc_lo
	ds_load_2addr_b64 v[4:7], v6 offset0:64 offset1:160
	v_add_co_u32 v20, vcc_lo, v24, v8
	v_add_nc_u32_e32 v18, 0xa80, v44
	s_wait_alu 0xfffd
	v_add_co_ci_u32_e32 v21, vcc_lo, v25, v9, vcc_lo
	ds_load_2addr_b64 v[8:11], v10 offset0:128 offset1:224
	v_add_nc_u32_e32 v44, 0xae0, v44
	v_lshlrev_b64_e32 v[18:19], 3, v[18:19]
	v_add_co_u32 v16, vcc_lo, v24, v16
	s_wait_alu 0xfffd
	v_add_co_ci_u32_e32 v17, vcc_lo, v25, v17, vcc_lo
	v_lshlrev_b64_e32 v[22:23], 3, v[44:45]
	s_delay_alu instid0(VALU_DEP_4) | instskip(SKIP_2) | instid1(VALU_DEP_3)
	v_add_co_u32 v18, vcc_lo, v24, v18
	s_wait_alu 0xfffd
	v_add_co_ci_u32_e32 v19, vcc_lo, v25, v19, vcc_lo
	v_add_co_u32 v22, vcc_lo, v24, v22
	s_wait_alu 0xfffd
	v_add_co_ci_u32_e32 v23, vcc_lo, v25, v23, vcc_lo
	s_wait_dscnt 0x2
	s_clause 0x1
	global_store_b64 v[12:13], v[0:1], off
	global_store_b64 v[14:15], v[2:3], off
	s_wait_dscnt 0x1
	s_clause 0x1
	global_store_b64 v[20:21], v[4:5], off
	global_store_b64 v[16:17], v[6:7], off
	;; [unrolled: 4-line block ×3, first 2 shown]
.LBB0_19:
	s_nop 0
	s_sendmsg sendmsg(MSG_DEALLOC_VGPRS)
	s_endpgm
	.section	.rodata,"a",@progbits
	.p2align	6, 0x0
	.amdhsa_kernel fft_rtc_back_len2880_factors_10_6_6_2_2_2_wgs_96_tpt_96_halfLds_sp_ip_CI_unitstride_sbrr_C2R_dirReg
		.amdhsa_group_segment_fixed_size 0
		.amdhsa_private_segment_fixed_size 0
		.amdhsa_kernarg_size 88
		.amdhsa_user_sgpr_count 2
		.amdhsa_user_sgpr_dispatch_ptr 0
		.amdhsa_user_sgpr_queue_ptr 0
		.amdhsa_user_sgpr_kernarg_segment_ptr 1
		.amdhsa_user_sgpr_dispatch_id 0
		.amdhsa_user_sgpr_private_segment_size 0
		.amdhsa_wavefront_size32 1
		.amdhsa_uses_dynamic_stack 0
		.amdhsa_enable_private_segment 0
		.amdhsa_system_sgpr_workgroup_id_x 1
		.amdhsa_system_sgpr_workgroup_id_y 0
		.amdhsa_system_sgpr_workgroup_id_z 0
		.amdhsa_system_sgpr_workgroup_info 0
		.amdhsa_system_vgpr_workitem_id 0
		.amdhsa_next_free_vgpr 181
		.amdhsa_next_free_sgpr 32
		.amdhsa_reserve_vcc 1
		.amdhsa_float_round_mode_32 0
		.amdhsa_float_round_mode_16_64 0
		.amdhsa_float_denorm_mode_32 3
		.amdhsa_float_denorm_mode_16_64 3
		.amdhsa_fp16_overflow 0
		.amdhsa_workgroup_processor_mode 1
		.amdhsa_memory_ordered 1
		.amdhsa_forward_progress 0
		.amdhsa_round_robin_scheduling 0
		.amdhsa_exception_fp_ieee_invalid_op 0
		.amdhsa_exception_fp_denorm_src 0
		.amdhsa_exception_fp_ieee_div_zero 0
		.amdhsa_exception_fp_ieee_overflow 0
		.amdhsa_exception_fp_ieee_underflow 0
		.amdhsa_exception_fp_ieee_inexact 0
		.amdhsa_exception_int_div_zero 0
	.end_amdhsa_kernel
	.text
.Lfunc_end0:
	.size	fft_rtc_back_len2880_factors_10_6_6_2_2_2_wgs_96_tpt_96_halfLds_sp_ip_CI_unitstride_sbrr_C2R_dirReg, .Lfunc_end0-fft_rtc_back_len2880_factors_10_6_6_2_2_2_wgs_96_tpt_96_halfLds_sp_ip_CI_unitstride_sbrr_C2R_dirReg
                                        ; -- End function
	.section	.AMDGPU.csdata,"",@progbits
; Kernel info:
; codeLenInByte = 18964
; NumSgprs: 34
; NumVgprs: 181
; ScratchSize: 0
; MemoryBound: 0
; FloatMode: 240
; IeeeMode: 1
; LDSByteSize: 0 bytes/workgroup (compile time only)
; SGPRBlocks: 4
; VGPRBlocks: 22
; NumSGPRsForWavesPerEU: 34
; NumVGPRsForWavesPerEU: 181
; Occupancy: 8
; WaveLimiterHint : 1
; COMPUTE_PGM_RSRC2:SCRATCH_EN: 0
; COMPUTE_PGM_RSRC2:USER_SGPR: 2
; COMPUTE_PGM_RSRC2:TRAP_HANDLER: 0
; COMPUTE_PGM_RSRC2:TGID_X_EN: 1
; COMPUTE_PGM_RSRC2:TGID_Y_EN: 0
; COMPUTE_PGM_RSRC2:TGID_Z_EN: 0
; COMPUTE_PGM_RSRC2:TIDIG_COMP_CNT: 0
	.text
	.p2alignl 7, 3214868480
	.fill 96, 4, 3214868480
	.type	__hip_cuid_eae17cccec80fe98,@object ; @__hip_cuid_eae17cccec80fe98
	.section	.bss,"aw",@nobits
	.globl	__hip_cuid_eae17cccec80fe98
__hip_cuid_eae17cccec80fe98:
	.byte	0                               ; 0x0
	.size	__hip_cuid_eae17cccec80fe98, 1

	.ident	"AMD clang version 19.0.0git (https://github.com/RadeonOpenCompute/llvm-project roc-6.4.0 25133 c7fe45cf4b819c5991fe208aaa96edf142730f1d)"
	.section	".note.GNU-stack","",@progbits
	.addrsig
	.addrsig_sym __hip_cuid_eae17cccec80fe98
	.amdgpu_metadata
---
amdhsa.kernels:
  - .args:
      - .actual_access:  read_only
        .address_space:  global
        .offset:         0
        .size:           8
        .value_kind:     global_buffer
      - .offset:         8
        .size:           8
        .value_kind:     by_value
      - .actual_access:  read_only
        .address_space:  global
        .offset:         16
        .size:           8
        .value_kind:     global_buffer
      - .actual_access:  read_only
        .address_space:  global
        .offset:         24
        .size:           8
        .value_kind:     global_buffer
      - .offset:         32
        .size:           8
        .value_kind:     by_value
      - .actual_access:  read_only
        .address_space:  global
        .offset:         40
        .size:           8
        .value_kind:     global_buffer
      - .actual_access:  read_only
        .address_space:  global
        .offset:         48
        .size:           8
        .value_kind:     global_buffer
      - .offset:         56
        .size:           4
        .value_kind:     by_value
      - .actual_access:  read_only
        .address_space:  global
        .offset:         64
        .size:           8
        .value_kind:     global_buffer
      - .actual_access:  read_only
        .address_space:  global
        .offset:         72
        .size:           8
        .value_kind:     global_buffer
      - .address_space:  global
        .offset:         80
        .size:           8
        .value_kind:     global_buffer
    .group_segment_fixed_size: 0
    .kernarg_segment_align: 8
    .kernarg_segment_size: 88
    .language:       OpenCL C
    .language_version:
      - 2
      - 0
    .max_flat_workgroup_size: 96
    .name:           fft_rtc_back_len2880_factors_10_6_6_2_2_2_wgs_96_tpt_96_halfLds_sp_ip_CI_unitstride_sbrr_C2R_dirReg
    .private_segment_fixed_size: 0
    .sgpr_count:     34
    .sgpr_spill_count: 0
    .symbol:         fft_rtc_back_len2880_factors_10_6_6_2_2_2_wgs_96_tpt_96_halfLds_sp_ip_CI_unitstride_sbrr_C2R_dirReg.kd
    .uniform_work_group_size: 1
    .uses_dynamic_stack: false
    .vgpr_count:     181
    .vgpr_spill_count: 0
    .wavefront_size: 32
    .workgroup_processor_mode: 1
amdhsa.target:   amdgcn-amd-amdhsa--gfx1201
amdhsa.version:
  - 1
  - 2
...

	.end_amdgpu_metadata
